;; amdgpu-corpus repo=ROCm/rocFFT kind=compiled arch=gfx1201 opt=O3
	.text
	.amdgcn_target "amdgcn-amd-amdhsa--gfx1201"
	.amdhsa_code_object_version 6
	.protected	bluestein_single_back_len1782_dim1_half_op_CI_CI ; -- Begin function bluestein_single_back_len1782_dim1_half_op_CI_CI
	.globl	bluestein_single_back_len1782_dim1_half_op_CI_CI
	.p2align	8
	.type	bluestein_single_back_len1782_dim1_half_op_CI_CI,@function
bluestein_single_back_len1782_dim1_half_op_CI_CI: ; @bluestein_single_back_len1782_dim1_half_op_CI_CI
; %bb.0:
	s_load_b128 s[12:15], s[0:1], 0x28
	v_mul_u32_u24_e32 v1, 0x296, v0
	s_mov_b32 s2, exec_lo
	v_mov_b32_e32 v3, 0
	s_delay_alu instid0(VALU_DEP_2) | instskip(NEXT) | instid1(VALU_DEP_1)
	v_lshrrev_b32_e32 v1, 16, v1
	v_add_nc_u32_e32 v2, ttmp9, v1
	s_wait_kmcnt 0x0
	s_delay_alu instid0(VALU_DEP_1)
	v_cmpx_gt_u64_e64 s[12:13], v[2:3]
	s_cbranch_execz .LBB0_15
; %bb.1:
	s_clause 0x1
	s_load_b128 s[4:7], s[0:1], 0x18
	s_load_b64 s[12:13], s[0:1], 0x0
	v_mul_lo_u16 v1, 0x63, v1
	s_delay_alu instid0(VALU_DEP_1) | instskip(NEXT) | instid1(VALU_DEP_1)
	v_sub_nc_u16 v11, v0, v1
	v_and_b32_e32 v79, 0xffff, v11
	s_wait_kmcnt 0x0
	s_load_b128 s[8:11], s[4:5], 0x0
	s_wait_kmcnt 0x0
	v_mad_co_u64_u32 v[0:1], null, s10, v2, 0
	v_mad_co_u64_u32 v[3:4], null, s8, v79, 0
	s_mul_u64 s[2:3], s[8:9], 0xa2
	s_delay_alu instid0(VALU_DEP_2) | instskip(NEXT) | instid1(VALU_DEP_2)
	v_mad_co_u64_u32 v[5:6], null, s11, v2, v[1:2]
	v_mov_b32_e32 v1, v4
	s_delay_alu instid0(VALU_DEP_1) | instskip(NEXT) | instid1(VALU_DEP_1)
	v_mad_co_u64_u32 v[6:7], null, s9, v79, v[1:2]
	v_dual_mov_b32 v4, v6 :: v_dual_lshlrev_b32 v63, 2, v79
	s_delay_alu instid0(VALU_DEP_4)
	v_mov_b32_e32 v1, v5
	s_clause 0x7
	global_load_b32 v84, v63, s[12:13]
	global_load_b32 v82, v63, s[12:13] offset:648
	global_load_b32 v80, v63, s[12:13] offset:1296
	;; [unrolled: 1-line block ×7, first 2 shown]
	v_lshlrev_b64_e32 v[0:1], 2, v[0:1]
	v_lshlrev_b64_e32 v[3:4], 2, v[3:4]
	s_clause 0x2
	global_load_b32 v68, v63, s[12:13] offset:5184
	global_load_b32 v65, v63, s[12:13] offset:5832
	;; [unrolled: 1-line block ×3, first 2 shown]
	v_add_nc_u32_e32 v7, 0x400, v63
	v_add_nc_u32_e32 v8, 0xa00, v63
	v_add_co_u32 v0, vcc_lo, s14, v0
	v_add_co_ci_u32_e32 v1, vcc_lo, s15, v1, vcc_lo
	s_lshl_b64 s[14:15], s[2:3], 2
	s_delay_alu instid0(VALU_DEP_2) | instskip(SKIP_1) | instid1(VALU_DEP_2)
	v_add_co_u32 v0, vcc_lo, v0, v3
	s_wait_alu 0xfffd
	v_add_co_ci_u32_e32 v1, vcc_lo, v1, v4, vcc_lo
	s_wait_alu 0xfffe
	s_delay_alu instid0(VALU_DEP_2) | instskip(SKIP_1) | instid1(VALU_DEP_2)
	v_add_co_u32 v3, vcc_lo, v0, s14
	s_wait_alu 0xfffd
	v_add_co_ci_u32_e32 v4, vcc_lo, s15, v1, vcc_lo
	s_clause 0x1
	global_load_b32 v9, v[0:1], off
	global_load_b32 v10, v[3:4], off
	v_add_co_u32 v0, vcc_lo, v3, s14
	s_wait_alu 0xfffd
	v_add_co_ci_u32_e32 v1, vcc_lo, s15, v4, vcc_lo
	s_delay_alu instid0(VALU_DEP_2) | instskip(SKIP_1) | instid1(VALU_DEP_2)
	v_add_co_u32 v3, vcc_lo, v0, s14
	s_wait_alu 0xfffd
	v_add_co_ci_u32_e32 v4, vcc_lo, s15, v1, vcc_lo
	s_clause 0x1
	global_load_b32 v12, v[0:1], off
	global_load_b32 v13, v[3:4], off
	v_add_co_u32 v0, vcc_lo, v3, s14
	s_wait_alu 0xfffd
	v_add_co_ci_u32_e32 v1, vcc_lo, s15, v4, vcc_lo
	s_delay_alu instid0(VALU_DEP_2) | instskip(SKIP_1) | instid1(VALU_DEP_2)
	v_add_co_u32 v3, vcc_lo, v0, s14
	s_wait_alu 0xfffd
	v_add_co_ci_u32_e32 v4, vcc_lo, s15, v1, vcc_lo
	global_load_b32 v14, v[0:1], off
	global_load_b32 v15, v[3:4], off
	v_add_co_u32 v0, vcc_lo, v3, s14
	s_wait_alu 0xfffd
	v_add_co_ci_u32_e32 v1, vcc_lo, s15, v4, vcc_lo
	s_delay_alu instid0(VALU_DEP_2) | instskip(SKIP_1) | instid1(VALU_DEP_2)
	v_add_co_u32 v3, vcc_lo, v0, s14
	s_wait_alu 0xfffd
	v_add_co_ci_u32_e32 v4, vcc_lo, s15, v1, vcc_lo
	global_load_b32 v16, v[0:1], off
	v_add_co_u32 v0, vcc_lo, v3, s14
	s_wait_alu 0xfffd
	v_add_co_ci_u32_e32 v1, vcc_lo, s15, v4, vcc_lo
	global_load_b32 v17, v[3:4], off
	;; [unrolled: 4-line block ×4, first 2 shown]
	global_load_b32 v6, v[3:4], off
	s_load_b64 s[10:11], s[0:1], 0x38
	s_load_b128 s[4:7], s[6:7], 0x0
	v_add_co_u32 v0, s2, s12, v63
	s_delay_alu instid0(VALU_DEP_1)
	v_add_co_ci_u32_e64 v1, null, s13, 0, s2
	v_cmp_gt_u16_e32 vcc_lo, 63, v11
	s_wait_loadcnt 0x15
	v_lshrrev_b32_e32 v86, 16, v84
	s_wait_loadcnt 0x14
	v_lshrrev_b32_e32 v85, 16, v82
	;; [unrolled: 2-line block ×12, first 2 shown]
	v_mul_f16_e32 v20, v86, v9
	s_wait_loadcnt 0x9
	v_lshrrev_b32_e32 v22, 16, v10
	v_mul_f16_e32 v23, v85, v10
	v_mul_f16_e32 v21, v86, v19
	v_fma_f16 v19, v84, v19, -v20
	s_delay_alu instid0(VALU_DEP_2)
	v_fmac_f16_e32 v21, v84, v9
	v_mul_f16_e32 v9, v85, v22
	v_fma_f16 v22, v82, v22, -v23
	s_wait_loadcnt 0x8
	v_lshrrev_b32_e32 v20, 16, v12
	v_mul_f16_e32 v23, v83, v12
	v_pack_b32_f16 v19, v21, v19
	v_fmac_f16_e32 v9, v82, v10
	s_wait_loadcnt 0x7
	v_lshrrev_b32_e32 v21, 16, v13
	v_mul_f16_e32 v10, v83, v20
	v_mul_f16_e32 v24, v81, v13
	v_fma_f16 v20, v80, v20, -v23
	v_pack_b32_f16 v9, v9, v22
	s_delay_alu instid0(VALU_DEP_4)
	v_fmac_f16_e32 v10, v80, v12
	v_mul_f16_e32 v12, v81, v21
	s_wait_loadcnt 0x6
	v_lshrrev_b32_e32 v22, 16, v14
	v_fma_f16 v21, v78, v21, -v24
	v_mul_f16_e32 v23, v77, v14
	ds_store_2addr_b32 v63, v19, v9 offset1:162
	v_pack_b32_f16 v9, v10, v20
	v_fmac_f16_e32 v12, v78, v13
	v_mul_f16_e32 v10, v77, v22
	s_wait_loadcnt 0x5
	v_lshrrev_b32_e32 v13, 16, v15
	v_mul_f16_e32 v19, v76, v15
	v_fma_f16 v20, v75, v22, -v23
	v_pack_b32_f16 v12, v12, v21
	v_fmac_f16_e32 v10, v75, v14
	v_mul_f16_e32 v14, v76, v13
	v_fma_f16 v13, v74, v13, -v19
	s_wait_loadcnt 0x4
	v_lshrrev_b32_e32 v19, 16, v16
	v_mul_f16_e32 v21, v73, v16
	ds_store_2addr_b32 v7, v9, v12 offset0:68 offset1:230
	v_pack_b32_f16 v12, v10, v20
	v_fmac_f16_e32 v14, v74, v15
	v_mul_f16_e32 v9, v73, v19
	s_wait_loadcnt 0x3
	v_lshrrev_b32_e32 v10, 16, v17
	v_fma_f16 v15, v72, v19, -v21
	v_mul_f16_e32 v19, v71, v17
	v_pack_b32_f16 v13, v14, v13
	v_fmac_f16_e32 v9, v72, v16
	v_mul_f16_e32 v14, v71, v10
	s_wait_loadcnt 0x2
	v_lshrrev_b32_e32 v16, 16, v18
	v_fma_f16 v10, v70, v10, -v19
	v_mul_f16_e32 v19, v69, v18
	v_pack_b32_f16 v15, v9, v15
	v_fmac_f16_e32 v14, v70, v17
	s_wait_loadcnt 0x1
	v_lshrrev_b32_e32 v9, 16, v5
	s_wait_loadcnt 0x0
	v_lshrrev_b32_e32 v20, 16, v6
	v_mul_f16_e32 v17, v69, v16
	v_fma_f16 v16, v68, v16, -v19
	v_mul_f16_e32 v19, v67, v5
	v_pack_b32_f16 v14, v14, v10
	v_mul_f16_e32 v10, v67, v9
	v_mul_f16_e32 v21, v66, v20
	;; [unrolled: 1-line block ×3, first 2 shown]
	v_fmac_f16_e32 v17, v68, v18
	v_fma_f16 v18, v65, v9, -v19
	v_fmac_f16_e32 v10, v65, v5
	v_fmac_f16_e32 v21, v64, v6
	v_fma_f16 v5, v64, v20, -v22
	v_add_nc_u32_e32 v9, 0xe00, v63
	v_pack_b32_f16 v6, v17, v16
	v_pack_b32_f16 v16, v10, v18
	v_add_nc_u32_e32 v10, 0x1400, v63
	v_pack_b32_f16 v5, v21, v5
	ds_store_2addr_b32 v8, v12, v13 offset0:8 offset1:170
	ds_store_2addr_b32 v9, v15, v14 offset0:76 offset1:238
	;; [unrolled: 1-line block ×3, first 2 shown]
	ds_store_b32 v63, v5 offset:6480
	s_and_saveexec_b32 s3, vcc_lo
	s_cbranch_execz .LBB0_3
; %bb.2:
	v_mad_co_u64_u32 v[3:4], null, 0xffffe83c, s8, v[3:4]
	s_mul_i32 s2, s9, 0xffffe83c
	v_add_nc_u32_e32 v31, 0xb00, v63
	s_wait_alu 0xfffe
	s_sub_co_i32 s2, s2, s8
	s_wait_alu 0xfffe
	s_delay_alu instid0(VALU_DEP_2)
	v_add_nc_u32_e32 v4, s2, v4
	global_load_b32 v11, v[3:4], off
	v_add_co_u32 v3, s2, v3, s14
	s_wait_alu 0xf1ff
	v_add_co_ci_u32_e64 v4, s2, s15, v4, s2
	s_clause 0x6
	global_load_b32 v12, v[0:1], off offset:396
	global_load_b32 v13, v[0:1], off offset:1044
	;; [unrolled: 1-line block ×7, first 2 shown]
	v_add_co_u32 v5, s2, v3, s14
	s_wait_alu 0xf1ff
	v_add_co_ci_u32_e64 v6, s2, s15, v4, s2
	s_clause 0x2
	global_load_b32 v19, v[0:1], off offset:4932
	global_load_b32 v20, v[0:1], off offset:5580
	;; [unrolled: 1-line block ×3, first 2 shown]
	global_load_b32 v22, v[3:4], off
	global_load_b32 v23, v[0:1], off offset:6876
	global_load_b32 v24, v[5:6], off
	v_add_co_u32 v3, s2, v5, s14
	s_wait_alu 0xf1ff
	v_add_co_ci_u32_e64 v4, s2, s15, v6, s2
	s_delay_alu instid0(VALU_DEP_2) | instskip(SKIP_1) | instid1(VALU_DEP_2)
	v_add_co_u32 v5, s2, v3, s14
	s_wait_alu 0xf1ff
	v_add_co_ci_u32_e64 v6, s2, s15, v4, s2
	global_load_b32 v25, v[3:4], off
	v_add_co_u32 v3, s2, v5, s14
	s_wait_alu 0xf1ff
	v_add_co_ci_u32_e64 v4, s2, s15, v6, s2
	global_load_b32 v26, v[5:6], off
	global_load_b32 v27, v[3:4], off
	v_add_co_u32 v3, s2, v3, s14
	s_wait_alu 0xf1ff
	v_add_co_ci_u32_e64 v4, s2, s15, v4, s2
	s_delay_alu instid0(VALU_DEP_2) | instskip(SKIP_1) | instid1(VALU_DEP_2)
	v_add_co_u32 v5, s2, v3, s14
	s_wait_alu 0xf1ff
	v_add_co_ci_u32_e64 v6, s2, s15, v4, s2
	global_load_b32 v28, v[3:4], off
	v_add_co_u32 v3, s2, v5, s14
	s_wait_alu 0xf1ff
	v_add_co_ci_u32_e64 v4, s2, s15, v6, s2
	global_load_b32 v29, v[5:6], off
	;; [unrolled: 4-line block ×4, first 2 shown]
	global_load_b32 v3, v[3:4], off
	v_add_nc_u32_e32 v4, 0x100, v63
	v_add_nc_u32_e32 v6, 0x600, v63
	s_wait_loadcnt 0x14
	v_lshrrev_b32_e32 v32, 16, v12
	v_lshrrev_b32_e32 v39, 16, v11
	s_wait_loadcnt 0x13
	v_lshrrev_b32_e32 v33, 16, v13
	s_wait_loadcnt 0x12
	;; [unrolled: 2-line block ×3, first 2 shown]
	v_lshrrev_b32_e32 v35, 16, v15
	v_mul_f16_e32 v43, v32, v11
	v_mul_f16_e32 v32, v32, v39
	s_wait_loadcnt 0x10
	v_lshrrev_b32_e32 v36, 16, v16
	s_wait_loadcnt 0xf
	v_lshrrev_b32_e32 v37, 16, v17
	s_wait_loadcnt 0xa
	v_lshrrev_b32_e32 v44, 16, v22
	v_mul_f16_e32 v46, v33, v22
	v_fma_f16 v39, v12, v39, -v43
	v_fmac_f16_e32 v32, v12, v11
	s_wait_loadcnt 0x8
	v_lshrrev_b32_e32 v12, 16, v24
	v_mul_f16_e32 v11, v33, v44
	v_fma_f16 v33, v13, v44, -v46
	v_mul_f16_e32 v43, v34, v24
	v_pack_b32_f16 v32, v32, v39
	v_lshrrev_b32_e32 v38, 16, v18
	v_fmac_f16_e32 v11, v13, v22
	v_mul_f16_e32 v13, v34, v12
	s_wait_loadcnt 0x7
	v_lshrrev_b32_e32 v22, 16, v25
	v_fma_f16 v12, v14, v12, -v43
	v_mul_f16_e32 v34, v35, v25
	v_pack_b32_f16 v11, v11, v33
	v_fmac_f16_e32 v13, v14, v24
	v_mul_f16_e32 v14, v35, v22
	s_wait_loadcnt 0x6
	v_lshrrev_b32_e32 v24, 16, v26
	v_mul_f16_e32 v33, v36, v26
	ds_store_2addr_b32 v4, v32, v11 offset0:35 offset1:197
	v_pack_b32_f16 v4, v13, v12
	s_wait_loadcnt 0x5
	v_lshrrev_b32_e32 v12, 16, v27
	v_mul_f16_e32 v11, v36, v24
	v_fma_f16 v22, v15, v22, -v34
	v_fmac_f16_e32 v14, v15, v25
	v_fma_f16 v13, v16, v24, -v33
	v_mul_f16_e32 v15, v37, v27
	v_fmac_f16_e32 v11, v16, v26
	v_mul_f16_e32 v16, v37, v12
	v_lshrrev_b32_e32 v40, 16, v19
	v_pack_b32_f16 v14, v14, v22
	s_wait_loadcnt 0x4
	v_lshrrev_b32_e32 v22, 16, v28
	v_fma_f16 v12, v17, v12, -v15
	v_mul_f16_e32 v15, v38, v28
	v_fmac_f16_e32 v16, v17, v27
	s_wait_loadcnt 0x3
	v_lshrrev_b32_e32 v17, 16, v29
	v_lshrrev_b32_e32 v41, 16, v20
	v_pack_b32_f16 v11, v11, v13
	v_mul_f16_e32 v13, v38, v22
	v_fma_f16 v15, v18, v22, -v15
	v_mul_f16_e32 v22, v40, v29
	v_pack_b32_f16 v12, v16, v12
	v_mul_f16_e32 v16, v40, v17
	v_lshrrev_b32_e32 v42, 16, v21
	v_fmac_f16_e32 v13, v18, v28
	s_wait_loadcnt 0x2
	v_lshrrev_b32_e32 v18, 16, v30
	v_fma_f16 v17, v19, v17, -v22
	v_mul_f16_e32 v22, v41, v30
	v_fmac_f16_e32 v16, v19, v29
	s_wait_loadcnt 0x1
	v_lshrrev_b32_e32 v19, 16, v5
	v_lshrrev_b32_e32 v45, 16, v23
	s_wait_loadcnt 0x0
	v_lshrrev_b32_e32 v24, 16, v3
	v_pack_b32_f16 v13, v13, v15
	v_mul_f16_e32 v15, v41, v18
	v_fma_f16 v18, v20, v18, -v22
	v_mul_f16_e32 v22, v42, v5
	v_pack_b32_f16 v16, v16, v17
	v_mul_f16_e32 v17, v42, v19
	v_mul_f16_e32 v25, v45, v24
	v_mul_f16_e32 v26, v45, v3
	v_fmac_f16_e32 v15, v20, v30
	v_fma_f16 v19, v21, v19, -v22
	v_fmac_f16_e32 v17, v21, v5
	v_fmac_f16_e32 v25, v23, v3
	v_fma_f16 v3, v23, v24, -v26
	v_add_nc_u32_e32 v5, 0x1000, v63
	v_pack_b32_f16 v15, v15, v18
	v_pack_b32_f16 v17, v17, v19
	v_add_nc_u32_e32 v18, 0x1500, v63
	v_pack_b32_f16 v3, v25, v3
	ds_store_2addr_b32 v6, v4, v14 offset0:39 offset1:201
	ds_store_2addr_b32 v31, v11, v12 offset0:43 offset1:205
	;; [unrolled: 1-line block ×4, first 2 shown]
	ds_store_b32 v63, v3 offset:6876
.LBB0_3:
	s_wait_alu 0xfffe
	s_or_b32 exec_lo, exec_lo, s3
	global_wb scope:SCOPE_SE
	s_wait_dscnt 0x0
	s_wait_kmcnt 0x0
	s_barrier_signal -1
	s_barrier_wait -1
	global_inv scope:SCOPE_SE
	ds_load_2addr_b32 v[5:6], v63 offset1:162
	ds_load_2addr_b32 v[19:20], v7 offset0:68 offset1:230
	ds_load_2addr_b32 v[21:22], v8 offset0:8 offset1:170
	;; [unrolled: 1-line block ×4, first 2 shown]
	ds_load_b32 v111, v63 offset:6480
	s_load_b64 s[0:1], s[0:1], 0x8
	v_mov_b32_e32 v7, 0
                                        ; implicit-def: $vgpr25
                                        ; implicit-def: $vgpr10
                                        ; implicit-def: $vgpr12
                                        ; implicit-def: $vgpr14
                                        ; implicit-def: $vgpr16
	s_and_saveexec_b32 s2, vcc_lo
	s_cbranch_execz .LBB0_5
; %bb.4:
	v_add_nc_u32_e32 v3, 0x100, v63
	v_add_nc_u32_e32 v4, 0x600, v63
	;; [unrolled: 1-line block ×5, first 2 shown]
	ds_load_2addr_b32 v[7:8], v3 offset0:35 offset1:197
	ds_load_2addr_b32 v[15:16], v4 offset0:39 offset1:201
	;; [unrolled: 1-line block ×5, first 2 shown]
	ds_load_b32 v25, v63 offset:6876
.LBB0_5:
	s_wait_alu 0xfffe
	s_or_b32 exec_lo, exec_lo, s2
	s_wait_dscnt 0x0
	v_pk_add_f16 v27, v8, v25 neg_lo:[0,1] neg_hi:[0,1]
	v_pk_add_f16 v26, v25, v8
	v_pk_add_f16 v28, v15, v10 neg_lo:[0,1] neg_hi:[0,1]
	v_lshrrev_b32_e32 v33, 16, v7
	v_pk_add_f16 v3, v5, v6
	v_lshrrev_b32_e32 v4, 16, v27
	v_lshrrev_b32_e32 v57, 16, v26
	v_mul_f16_e32 v39, 0xbb47, v27
	v_lshrrev_b32_e32 v30, 16, v28
	v_mul_f16_e32 v46, 0xbbeb, v27
	v_mul_f16_e32 v37, 0xb853, v4
	v_mul_f16_e32 v44, 0xbbeb, v4
	v_fma_f16 v29, v57, 0x36a6, -v39
	v_mul_f16_e32 v51, 0xba0c, v4
	v_mul_f16_e32 v35, 0xbb47, v30
	v_fmamk_f16 v31, v26, 0x3abb, v37
	v_fmamk_f16 v36, v26, 0xb08e, v44
	v_add_f16_e32 v4, v29, v33
	v_pk_add_f16 v29, v10, v15
	v_mul_f16_e32 v42, 0xba0c, v28
	v_add_f16_e32 v31, v31, v7
	v_mul_f16_e32 v47, 0x3482, v30
	v_fma_f16 v34, v57, 0xb08e, -v46
	v_fmamk_f16 v41, v29, 0x36a6, v35
	v_lshrrev_b32_e32 v61, 16, v29
	v_mul_f16_e32 v55, 0xba0c, v27
	v_fmamk_f16 v38, v26, 0xb93d, v51
	v_add_f16_e32 v36, v36, v7
	v_add_f16_e32 v45, v41, v31
	v_fma_f16 v41, v61, 0xb93d, -v42
	v_fmamk_f16 v48, v29, 0xbbad, v47
	v_mul_f16_e32 v52, 0x3482, v28
	v_pk_add_f16 v31, v16, v9 neg_lo:[0,1] neg_hi:[0,1]
	v_mul_f16_e32 v58, 0x3beb, v30
	v_add_f16_e32 v34, v34, v33
	v_add_f16_e32 v40, v38, v7
	v_fma_f16 v38, v57, 0xb93d, -v55
	v_add_f16_e32 v4, v41, v4
	v_add_f16_e32 v36, v48, v36
	v_fma_f16 v41, v61, 0xbbad, -v52
	v_lshrrev_b32_e32 v48, 16, v31
	v_fmamk_f16 v49, v29, 0xb08e, v58
	v_mul_f16_e32 v62, 0x3beb, v28
	v_pk_add_f16 v30, v9, v16
	v_add_f16_e32 v43, v38, v33
	v_add_f16_e32 v50, v41, v34
	v_mul_f16_e32 v41, 0xbbeb, v48
	v_add_f16_e32 v40, v49, v40
	v_fma_f16 v34, v61, 0xb08e, -v62
	v_lshrrev_b32_e32 v98, 16, v30
	v_mul_f16_e32 v49, 0x3482, v31
	v_fmamk_f16 v54, v30, 0xb08e, v41
	v_mul_f16_e32 v53, 0x3b47, v48
	v_add_f16_e32 v56, v34, v43
	v_mul_f16_e32 v59, 0x3b47, v31
	v_fma_f16 v34, v98, 0xbbad, -v49
	v_add_f16_e32 v45, v54, v45
	v_fmamk_f16 v54, v30, 0x36a6, v53
	v_mul_f16_e32 v94, 0xb853, v48
	v_fma_f16 v48, v98, 0x36a6, -v59
	v_add_f16_e32 v4, v34, v4
	v_pk_add_f16 v34, v13, v12 neg_lo:[0,1] neg_hi:[0,1]
	v_add_f16_e32 v87, v54, v36
	v_mul_f16_e32 v96, 0xb853, v31
	v_fmamk_f16 v54, v30, 0x3abb, v94
	v_pk_add_f16 v36, v12, v13
	v_lshrrev_b32_e32 v88, 16, v34
	v_add_f16_e32 v89, v48, v50
	v_fma_f16 v50, v98, 0x3abb, -v96
	v_add_f16_e32 v90, v54, v40
	v_lshrrev_b32_e32 v102, 16, v36
	v_mul_f16_e32 v48, 0xba0c, v88
	v_mul_f16_e32 v54, 0x3beb, v34
	v_pk_mul_f16 v91, 0x3abb36a6, v26
	v_add_f16_e32 v93, v50, v56
	v_mul_f16_e32 v95, 0xb853, v34
	v_fmamk_f16 v40, v36, 0xb93d, v48
	v_fma_f16 v56, v102, 0xb08e, -v54
	v_pk_fma_f16 v32, 0xbb47b853, v27, v91 op_sel:[0,0,1] op_sel_hi:[1,1,0]
	v_pk_mul_f16 v92, 0x36a6b93d, v29
	v_mul_f16_e32 v60, 0xb853, v88
	v_add_f16_e32 v100, v40, v45
	v_add_f16_e32 v106, v56, v4
	v_fma_f16 v4, v102, 0x3abb, -v95
	v_pk_add_f16 v40, v14, v11 neg_lo:[0,1] neg_hi:[0,1]
	v_pk_add_f16 v3, v3, v19
	v_pk_fma_f16 v38, 0xba0cbb47, v28, v92 op_sel:[0,0,1] op_sel_hi:[1,1,0]
	v_pk_mul_f16 v97, 0xb08ebbad, v30
	v_fmamk_f16 v45, v36, 0x3abb, v60
	v_mul_f16_e32 v99, 0xb482, v88
	v_mul_f16_e32 v103, 0xb482, v34
	v_add_f16_e32 v89, v4, v89
	v_lshrrev_b32_e32 v108, 16, v40
	v_lshrrev_b32_e32 v4, 16, v32
	v_pk_add_f16 v3, v3, v20
	v_pk_fma_f16 v43, 0x3482bbeb, v31, v97 op_sel:[0,0,1] op_sel_hi:[1,1,0]
	v_pk_mul_f16 v107, 0xb93db08e, v36
	v_add_f16_e32 v112, v45, v87
	v_fmamk_f16 v87, v36, 0xbbad, v99
	v_fma_f16 v88, v102, 0xbbad, -v103
	v_pk_add_f16 v45, v11, v14
	v_mul_f16_e32 v56, 0xb482, v108
	v_add_f16_e32 v4, v4, v7
	v_lshrrev_b32_e32 v101, 16, v38
	v_pk_add_f16 v3, v3, v21
	v_pk_fma_f16 v50, 0x3bebba0c, v34, v107 op_sel:[0,0,1] op_sel_hi:[1,1,0]
	v_add_f16_e32 v109, v87, v90
	v_fmamk_f16 v87, v45, 0xbbad, v56
	v_add_f16_e32 v90, v88, v93
	v_add_f16_e32 v4, v101, v4
	v_lshrrev_b32_e32 v88, 16, v43
	v_pk_mul_f16 v110, 0xbbad3abb, v45
	v_pk_add_f16 v3, v3, v22
	v_mul_f16_e32 v101, 0xba0c, v108
	v_add_f16_e32 v87, v87, v100
	v_lshrrev_b32_e32 v105, 16, v45
	v_add_f16_e32 v4, v88, v4
	v_lshrrev_b32_e32 v88, 16, v50
	v_pk_fma_f16 v93, 0x3853b482, v40, v110 op_sel:[0,0,1] op_sel_hi:[1,1,0]
	v_mul_f16_e32 v100, 0x3853, v40
	v_pk_add_f16 v3, v3, v23
	v_fmamk_f16 v114, v45, 0xb93d, v101
	v_add_f16_e32 v4, v88, v4
	v_lshrrev_b32_e32 v88, 16, v93
	v_fma_f16 v113, v105, 0x3abb, -v100
	v_pk_add_f16 v115, v3, v24
	v_add_f16_e32 v3, v114, v112
	v_pk_add_f16 v114, v6, v111 neg_lo:[0,1] neg_hi:[0,1]
	v_mul_f16_e32 v104, 0xba0c, v40
	v_add_f16_e32 v4, v88, v4
	v_add_f16_e32 v88, v113, v106
	v_mul_f16_e32 v106, 0x3b47, v40
	v_pk_add_f16 v113, v115, v17
	v_pk_add_f16 v115, v24, v21
	v_pk_add_f16 v21, v21, v24 neg_lo:[0,1] neg_hi:[0,1]
	v_pk_add_f16 v24, v23, v22
	v_pk_add_f16 v22, v22, v23 neg_lo:[0,1] neg_hi:[0,1]
	v_pk_add_f16 v23, v18, v19
	v_lshrrev_b32_e32 v116, 16, v114
	v_pk_add_f16 v6, v111, v6
	v_pk_add_f16 v19, v19, v18 neg_lo:[0,1] neg_hi:[0,1]
	v_fma_f16 v112, v105, 0xb93d, -v104
	v_pk_add_f16 v117, v17, v20
	v_pk_add_f16 v17, v20, v17 neg_lo:[0,1] neg_hi:[0,1]
	v_mul_f16_e32 v20, 0xb853, v116
	v_pk_mul_f16 v118, 0x3abb36a6, v6
	v_pk_add_f16 v18, v113, v18
	v_fma_f16 v113, v105, 0x36a6, -v106
	v_lshrrev_b32_e32 v128, 16, v19
	v_add_f16_e32 v89, v112, v89
	v_fma_f16 v112, v6, 0x3abb, -v20
	v_pk_fma_f16 v119, 0xbb47b853, v114, v118 op_sel:[0,0,1] op_sel_hi:[1,1,0] neg_lo:[0,1,0] neg_hi:[0,1,0]
	v_pk_fma_f16 v118, 0xbb47b853, v114, v118 op_sel:[0,0,1] op_sel_hi:[1,1,0]
	v_add_f16_e32 v90, v113, v90
	v_mul_f16_e32 v113, 0xbbeb, v116
	v_mul_f16_e32 v116, 0xba0c, v116
	v_pk_mul_f16 v120, 0xbbad, v6 op_sel_hi:[0,1]
	v_pk_mul_f16 v130, 0x36a6b93d, v23
	v_mul_f16_e64 v131, 0xbb47, v128
	v_fmac_f16_e32 v20, 0x3abb, v6
	v_pk_add_f16 v111, v18, v111
	v_add_f16_e32 v18, v5, v112
	v_bfi_b32 v112, 0xffff, v118, v119
	v_fma_f16 v121, v6, 0xb08e, -v113
	v_fmac_f16_e32 v113, 0xb08e, v6
	v_pk_fma_f16 v122, 0xb482, v114, v120 op_sel:[0,0,1] op_sel_hi:[0,1,0] neg_lo:[0,1,0] neg_hi:[0,1,0]
	v_fma_f16 v123, v6, 0xb93d, -v116
	v_fmac_f16_e32 v116, 0xb93d, v6
	v_pk_fma_f16 v120, 0xb482, v114, v120 op_sel:[0,0,1] op_sel_hi:[0,1,0]
	v_lshrrev_b32_e32 v6, 16, v6
	v_mul_f16_e32 v126, 0xbb47, v114
	v_mul_f16_e32 v127, 0xbbeb, v114
	;; [unrolled: 1-line block ×3, first 2 shown]
	v_pk_fma_f16 v133, 0xba0cbb47, v19, v130 op_sel:[0,0,1] op_sel_hi:[1,1,0] neg_lo:[0,1,0] neg_hi:[0,1,0]
	v_pk_fma_f16 v130, 0xba0cbb47, v19, v130 op_sel:[0,0,1] op_sel_hi:[1,1,0]
	v_fma_f16 v134, v23, 0x36a6, -v131
	v_add_f16_e32 v20, v5, v20
	v_pk_add_f16 v112, v5, v112 op_sel:[1,0] op_sel_hi:[0,1]
	v_lshrrev_b32_e32 v125, 16, v5
	v_fma_f16 v129, 0x36a6, v6, v126
	v_fma_f16 v126, v6, 0x36a6, -v126
	v_fma_f16 v132, 0xb08e, v6, v127
	v_fma_f16 v127, v6, 0xb08e, -v127
	;; [unrolled: 2-line block ×3, first 2 shown]
	v_fmac_f16_e64 v131, 0x36a6, v23
	v_bfi_b32 v114, 0xffff, v130, v133
	v_add_f16_e64 v18, v134, v18
	v_lshrrev_b32_e32 v134, 16, v23
	v_mul_f16_e64 v136, 0xba0c, v19
	s_wait_kmcnt 0x0
	v_alignbit_b32 v118, s0, v118, 16
	v_add_f16_e64 v20, v131, v20
	v_pk_add_f16 v112, v114, v112
	v_add_f16_e64 v114, v125, v129
	v_fma_f16 v131, 0xb93d, v134, v136
	v_pk_add_f16 v118, v5, v118
	v_alignbit_b32 v130, s0, v130, 16
	v_add_f16_e32 v126, v125, v126
	v_fma_f16 v136, v134, 0xb93d, -v136
	v_add_f16_e64 v114, v131, v114
	v_mul_f16_e64 v131, 0x3482, v19
	v_mul_f16_e64 v129, 0x3482, v128
	v_pk_add_f16 v118, v130, v118
	v_add_f16_e64 v126, v136, v126
	v_add_f16_e64 v130, v125, v132
	v_fma_f16 v132, 0xbbad, v134, v131
	v_mul_f16_e64 v136, 0x3beb, v19
	v_add_f16_e32 v127, v125, v127
	v_fma_f16 v131, v134, 0xbbad, -v131
	v_add_f16_e32 v121, v5, v121
	v_add_f16_e32 v113, v5, v113
	v_fma_f16 v137, v23, 0xbbad, -v129
	v_mul_f16_e64 v128, 0x3beb, v128
	v_fmac_f16_e64 v129, 0xbbad, v23
	v_add_f16_e64 v135, v125, v135
	v_fma_f16 v138, 0xb08e, v134, v136
	v_add_f16_e64 v127, v131, v127
	v_lshrrev_b32_e32 v131, 16, v17
	v_add_f16_e32 v116, v5, v116
	v_add_f16_e64 v121, v137, v121
	v_fma_f16 v137, v23, 0xb08e, -v128
	v_add_f16_e64 v130, v132, v130
	v_add_f16_e64 v113, v129, v113
	;; [unrolled: 1-line block ×3, first 2 shown]
	v_pk_mul_f16 v132, 0xb08ebbad, v117
	v_fmac_f16_e64 v128, 0xb08e, v23
	v_mul_f16_e64 v135, 0xbbeb, v131
	v_add_f16_e32 v123, v5, v123
	v_fma_f16 v134, v134, 0xb08e, -v136
	v_add_f16_e32 v6, v125, v6
	v_pk_fma_f16 v136, 0x3482bbeb, v17, v132 op_sel:[0,0,1] op_sel_hi:[1,1,0] neg_lo:[0,1,0] neg_hi:[0,1,0]
	v_pk_fma_f16 v132, 0x3482bbeb, v17, v132 op_sel:[0,0,1] op_sel_hi:[1,1,0]
	v_add_f16_e64 v116, v128, v116
	v_fma_f16 v128, v117, 0xb08e, -v135
	v_fmac_f16_e64 v135, 0xb08e, v117
	v_add_f16_e64 v123, v137, v123
	v_add_f16_e64 v6, v134, v6
	v_bfi_b32 v134, 0xffff, v132, v136
	v_lshrrev_b32_e32 v137, 16, v117
	v_mul_f16_e64 v138, 0x3482, v17
	v_add_f16_e64 v18, v128, v18
	v_add_f16_e64 v20, v135, v20
	v_mul_f16_e64 v128, 0x3b47, v131
	v_alignbit_b32 v132, s0, v132, 16
	v_mul_f16_e64 v135, 0x3b47, v17
	v_pk_add_f16 v112, v134, v112
	v_fma_f16 v134, 0xbbad, v137, v138
	v_fma_f16 v139, v117, 0x36a6, -v128
	v_pk_add_f16 v118, v132, v118
	v_fma_f16 v132, 0x36a6, v137, v135
	v_mul_f16_e64 v131, 0xb853, v131
	v_fmac_f16_e64 v128, 0x36a6, v117
	v_fma_f16 v138, v137, 0xbbad, -v138
	v_add_f16_e64 v114, v134, v114
	v_add_f16_e64 v130, v132, v130
	v_fma_f16 v132, v137, 0x36a6, -v135
	v_mul_f16_e64 v134, 0xb853, v17
	v_fma_f16 v135, v117, 0x3abb, -v131
	v_add_f16_e64 v113, v128, v113
	v_lshrrev_b32_e32 v128, 16, v21
	v_add_f16_e64 v126, v138, v126
	v_add_f16_e64 v127, v132, v127
	v_fma_f16 v132, 0x3abb, v137, v134
	v_add_f16_e64 v123, v135, v123
	v_fmac_f16_e64 v131, 0x3abb, v117
	v_mul_f16_e64 v135, 0xba0c, v128
	v_pk_mul_f16 v138, 0xb93db08e, v115
	v_add_f16_e64 v121, v139, v121
	v_add_f16_e64 v129, v132, v129
	v_fma_f16 v132, v137, 0x3abb, -v134
	v_add_f16_e64 v116, v131, v116
	v_fma_f16 v131, v115, 0xb93d, -v135
	v_pk_fma_f16 v134, 0x3bebba0c, v21, v138 op_sel:[0,0,1] op_sel_hi:[1,1,0] neg_lo:[0,1,0] neg_hi:[0,1,0]
	v_pk_fma_f16 v137, 0x3bebba0c, v21, v138 op_sel:[0,0,1] op_sel_hi:[1,1,0]
	v_lshrrev_b32_e32 v138, 16, v115
	v_mul_f16_e64 v139, 0x3beb, v21
	v_fmac_f16_e64 v135, 0xb93d, v115
	v_add_f16_e64 v6, v132, v6
	v_add_f16_e32 v119, v125, v119
	v_add_f16_e64 v18, v131, v18
	v_fma_f16 v132, 0xb08e, v138, v139
	v_add_f16_e64 v20, v135, v20
	v_fma_f16 v135, v138, 0xb08e, -v139
	v_mul_f16_e64 v139, 0xb853, v128
	v_mul_f16_e64 v128, 0xb482, v128
	v_add_f16_e64 v114, v132, v114
	v_add_f16_e64 v119, v133, v119
	;; [unrolled: 1-line block ×3, first 2 shown]
	v_mul_f16_e64 v135, 0xb482, v21
	v_fma_f16 v132, v115, 0x3abb, -v139
	v_bfi_b32 v131, 0xffff, v137, v134
	v_add_f16_e64 v119, v136, v119
	v_lshrrev_b32_e32 v136, 16, v24
	v_fma_f16 v141, 0xbbad, v138, v135
	v_add_f16_e64 v121, v132, v121
	v_fma_f16 v132, v115, 0xbbad, -v128
	v_fmac_f16_e64 v128, 0xbbad, v115
	v_pk_add_f16 v112, v131, v112
	v_add_f16_e64 v125, v141, v129
	v_lshrrev_b32_e32 v129, 16, v22
	v_add_f16_e64 v123, v132, v123
	v_fma_f16 v132, v138, 0xbbad, -v135
	v_add_f16_e64 v116, v128, v116
	v_pk_mul_f16 v128, 0xbbad3abb, v24
	v_mul_f16_e64 v133, 0xb482, v129
	v_mul_f16_e64 v131, 0xb853, v21
	v_add_f16_e64 v6, v132, v6
	v_add_f16_e64 v119, v134, v119
	v_pk_fma_f16 v134, 0x3853b482, v22, v128 op_sel:[0,0,1] op_sel_hi:[1,1,0] neg_lo:[0,1,0] neg_hi:[0,1,0]
	v_fma_f16 v132, v24, 0xbbad, -v133
	v_fmac_f16_e64 v133, 0xbbad, v24
	v_pk_fma_f16 v135, 0x3853b482, v22, v128 op_sel:[0,0,1] op_sel_hi:[1,1,0]
	v_fma_f16 v140, 0x3abb, v138, v131
	v_fma_f16 v131, v138, 0x3abb, -v131
	v_mul_f16_e64 v138, 0x3853, v22
	v_add_f16_e64 v18, v132, v18
	v_add_f16_e64 v132, v133, v20
	v_bfi_b32 v20, 0xffff, v135, v134
	v_alignbit_b32 v124, s0, v122, 16
	v_fma_f16 v135, v136, 0x3abb, -v138
	v_pk_add_f16 v120, v5, v120 op_sel:[1,0] op_sel_hi:[0,1]
	v_add_f16_e64 v130, v140, v130
	v_pk_add_f16 v20, v20, v112
	v_mul_f16_e64 v112, 0xb93d, v136
	v_pk_add_f16 v124, v5, v124
	v_alignbit_b32 v5, s0, v5, 16
	v_add_f16_e64 v126, v135, v126
	v_pk_mul_f16 v23, 0x3abb, v23 op_sel_hi:[0,1]
	v_fma_f16 v135, 0xba0c, v22, v112
	v_add_f16_e64 v119, v134, v119
	v_mul_f16_e64 v134, 0xba0c, v129
	v_mul_f16_e64 v129, 0x3b47, v129
	v_pk_mul_f16 v117, 0xb93d, v117 op_sel_hi:[0,1]
	v_add_f16_e64 v130, v135, v130
	v_pk_fma_f16 v135, 0x3853, v19, v23 op_sel:[0,0,1] op_sel_hi:[0,1,0] neg_lo:[0,1,0] neg_hi:[0,1,0]
	v_pk_fma_f16 v19, 0x3853, v19, v23 op_sel:[0,0,1] op_sel_hi:[0,1,0]
	v_pk_add_f16 v5, v5, v122
	v_fmac_f16_e64 v139, 0x3abb, v115
	v_fma_f16 v133, 0x3abb, v136, v138
	v_fma_f16 v138, v24, 0x36a6, -v129
	v_fmac_f16_e64 v129, 0x36a6, v24
	v_pk_fma_f16 v23, 0xba0c, v17, v117 op_sel:[0,0,1] op_sel_hi:[0,1,0] neg_lo:[0,1,0] neg_hi:[0,1,0]
	v_pk_mul_f16 v115, 0x36a6, v115 op_sel_hi:[0,1]
	v_pk_add_f16 v19, v19, v120
	v_pk_fma_f16 v17, 0xba0c, v17, v117 op_sel:[0,0,1] op_sel_hi:[0,1,0]
	v_pk_add_f16 v5, v135, v5
	v_add_f16_e64 v114, v133, v114
	v_fma_f16 v133, v24, 0xb93d, -v134
	v_fmac_f16_e64 v134, 0xb93d, v24
	v_add_f16_e64 v116, v129, v116
	v_alignbit_b32 v129, s0, v135, 16
	v_pk_fma_f16 v117, 0x3b47, v21, v115 op_sel:[0,0,1] op_sel_hi:[0,1,0] neg_lo:[0,1,0] neg_hi:[0,1,0]
	v_pk_mul_f16 v24, 0xb08e, v24 op_sel_hi:[0,1]
	v_pk_add_f16 v17, v17, v19
	v_pk_fma_f16 v21, 0x3b47, v21, v115 op_sel:[0,0,1] op_sel_hi:[0,1,0]
	v_pk_add_f16 v5, v23, v5
	v_pk_add_f16 v122, v129, v124
	v_alignbit_b32 v120, s0, v23, 16
	v_pk_fma_f16 v115, 0xbbeb, v22, v24 op_sel:[0,0,1] op_sel_hi:[0,1,0] neg_lo:[0,1,0] neg_hi:[0,1,0]
	v_pk_add_f16 v17, v21, v17
	v_pk_fma_f16 v23, 0xbbeb, v22, v24 op_sel:[0,0,1] op_sel_hi:[0,1,0]
	v_pk_add_f16 v5, v117, v5
	v_pack_b32_f16 v24, v18, v20
	v_pk_mul_f16 v18, 0x3853b482, v22
	v_add_f16_e64 v121, v133, v121
	v_pk_add_f16 v120, v120, v122
	v_alignbit_b32 v19, s0, v117, 16
	v_alignbit_b32 v21, s0, v115, 16
	v_pk_add_f16 v17, v23, v17
	v_pk_add_f16 v5, v115, v5
	v_bfi_b32 v115, 0xffff, v127, v18
	v_pk_fma_f16 v18, 0xbb47b853, v27, v91 op_sel:[0,0,1] op_sel_hi:[1,1,0] neg_lo:[0,1,0] neg_hi:[0,1,0]
	v_alignbit_b32 v114, v114, v20, 16
	v_pk_add_f16 v19, v19, v120
	v_pack_b32_f16 v120, v121, v130
	v_alignbit_b32 v121, v5, v17, 16
	v_pk_fma_f16 v20, 0xba0cbb47, v28, v92 op_sel:[0,0,1] op_sel_hi:[1,1,0] neg_lo:[0,1,0] neg_hi:[0,1,0]
	v_add_f16_e32 v5, v18, v33
	v_add_f16_e64 v113, v139, v113
	v_mul_f16_e64 v133, 0x3b47, v22
	v_pk_add_f16 v19, v21, v19
	v_mul_f16_e32 v22, 0xba0c, v22
	v_lshlrev_b32_e32 v91, 16, v118
	v_pk_fma_f16 v21, 0x3482bbeb, v31, v97 op_sel:[0,0,1] op_sel_hi:[1,1,0] neg_lo:[0,1,0] neg_hi:[0,1,0]
	v_add_f16_e32 v5, v20, v5
	v_add_f16_e64 v113, v134, v113
	v_fma_f16 v134, 0x36a6, v136, v133
	v_fma_f16 v133, v136, 0x36a6, -v133
	v_pack_b32_f16 v23, v131, v128
	v_pack_b32_f16 v118, v19, v17
	v_pk_add_f16 v17, v112, v22 neg_lo:[0,1] neg_hi:[0,1]
	v_pk_add_f16 v91, v137, v91
	v_pk_fma_f16 v19, 0x3bebba0c, v34, v107 op_sel:[0,0,1] op_sel_hi:[1,1,0] neg_lo:[0,1,0] neg_hi:[0,1,0]
	v_add_f16_e32 v5, v21, v5
	v_mul_lo_u16 v92, v79, 11
	v_add_f16_e64 v6, v133, v6
	v_mul_f16_e32 v22, 0x3b47, v108
	v_pk_add_f16 v23, v23, v115
	v_bfi_b32 v91, 0xffff, v17, v91
	v_pk_fma_f16 v17, 0x3853b482, v40, v110 op_sel:[0,0,1] op_sel_hi:[1,1,0] neg_lo:[0,1,0] neg_hi:[0,1,0]
	v_add_f16_e32 v97, v19, v5
	v_and_b32_e32 v108, 0xffff, v92
	v_pack_b32_f16 v107, v116, v6
	v_fmamk_f16 v6, v45, 0x36a6, v22
	v_add_co_u32 v5, s2, 0x63, v79
	v_add_f16_e64 v123, v138, v123
	v_add_f16_e64 v125, v134, v125
	v_pk_add_f16 v23, v91, v23
	v_add_f16_e32 v92, v17, v97
	v_lshlrev_b32_e32 v97, 2, v108
	s_wait_alu 0xf1ff
	v_add_co_ci_u32_e64 v91, null, 0, 0, s2
	v_add_f16_e32 v6, v6, v109
	v_mul_u32_u24_e32 v91, 11, v5
	v_pack_b32_f16 v117, v123, v125
	global_wb scope:SCOPE_SE
	s_barrier_signal -1
	s_barrier_wait -1
	global_inv scope:SCOPE_SE
	ds_store_2addr_b32 v97, v111, v107 offset1:7
	v_alignbit_b32 v107, v126, v23, 16
	v_pack_b32_f16 v23, v113, v23
	v_pack_b32_f16 v108, v132, v119
	ds_store_2addr_b32 v97, v24, v114 offset0:1 offset1:2
	ds_store_2addr_b32 v97, v120, v117 offset0:3 offset1:4
	;; [unrolled: 1-line block ×4, first 2 shown]
	ds_store_b32 v97, v108 offset:40
	s_and_saveexec_b32 s2, vcc_lo
	s_cbranch_execz .LBB0_7
; %bb.6:
	v_pk_add_f16 v8, v8, v7
	v_mul_f16_e32 v23, 0x3abb, v26
	v_mul_f16_e32 v110, 0x36a6, v29
	;; [unrolled: 1-line block ×4, first 2 shown]
	v_pk_add_f16 v8, v15, v8
	v_sub_f16_e32 v23, v23, v37
	v_sub_f16_e32 v15, v110, v35
	v_mul_f16_e32 v113, 0xbbad, v61
	v_mul_f16_e32 v61, 0xb08e, v61
	v_pk_add_f16 v8, v16, v8
	v_add_f16_e32 v23, v23, v7
	v_mul_f16_e32 v120, 0xb93d, v36
	v_sub_f16_e32 v16, v115, v41
	v_bfi_b32 v18, 0xffff, v32, v18
	v_pk_add_f16 v8, v13, v8
	v_add_f16_e32 v15, v15, v23
	v_add_f16_e32 v61, v62, v61
	v_mul_f16_e32 v62, 0xbbad, v45
	v_bfi_b32 v13, 0xffff, v38, v20
	v_pk_add_f16 v8, v14, v8
	v_add_f16_e32 v15, v16, v15
	v_sub_f16_e32 v16, v120, v48
	v_pk_add_f16 v14, v18, v7 op_sel:[0,1] op_sel_hi:[1,0]
	v_mul_f16_e32 v24, 0x36a6, v57
	v_pk_add_f16 v8, v11, v8
	v_mul_f16_e32 v108, 0xb08e, v57
	v_mul_f16_e32 v57, 0xb93d, v57
	;; [unrolled: 1-line block ×4, first 2 shown]
	v_bfi_b32 v20, 0xffff, v43, v21
	v_add_f16_e32 v15, v16, v15
	v_sub_f16_e32 v16, v62, v56
	v_pk_add_f16 v11, v13, v14
	v_pk_mul_f16 v13, 0xb482, v27 op_sel_hi:[0,1]
	v_pk_add_f16 v8, v12, v8
	v_add_f16_e32 v55, v55, v57
	v_add_f16_e32 v46, v46, v108
	;; [unrolled: 1-line block ×3, first 2 shown]
	v_mul_f16_e32 v112, 0xbbad, v29
	v_mul_f16_e32 v114, 0xb08e, v29
	v_sub_f16_e32 v51, v109, v51
	v_sub_f16_e32 v44, v107, v44
	v_bfi_b32 v18, 0xffff, v50, v19
	v_add_f16_e32 v15, v16, v15
	v_pk_add_f16 v11, v20, v11
	v_pk_fma_f16 v12, 0xbbad, v26, v13 op_sel:[0,0,1] op_sel_hi:[0,1,0] neg_lo:[0,0,1] neg_hi:[0,0,1]
	v_pk_fma_f16 v13, 0xbbad, v26, v13 op_sel:[0,0,1] op_sel_hi:[0,1,0]
	v_pk_mul_f16 v16, 0x3853, v28 op_sel_hi:[0,1]
	v_pk_add_f16 v8, v9, v8
	v_mul_f16_e32 v116, 0xbbad, v98
	v_add_f16_e32 v55, v55, v33
	v_add_f16_e32 v46, v46, v33
	;; [unrolled: 1-line block ×4, first 2 shown]
	v_mul_f16_e32 v117, 0x36a6, v30
	v_mul_f16_e32 v118, 0x36a6, v98
	;; [unrolled: 1-line block ×4, first 2 shown]
	v_add_f16_e32 v51, v51, v7
	v_sub_f16_e32 v58, v114, v58
	v_add_f16_e32 v52, v52, v113
	v_add_f16_e32 v44, v44, v7
	v_sub_f16_e32 v47, v112, v47
	v_bfi_b32 v14, 0xffff, v93, v17
	v_pk_add_f16 v9, v18, v11
	v_bfi_b32 v11, 0xffff, v12, v13
	v_pk_fma_f16 v18, 0x3abb, v29, v16 op_sel:[0,0,1] op_sel_hi:[0,1,0] neg_lo:[0,0,1] neg_hi:[0,0,1]
	v_pk_fma_f16 v16, 0x3abb, v29, v16 op_sel:[0,0,1] op_sel_hi:[0,1,0]
	v_pk_add_f16 v8, v10, v8
	v_pk_mul_f16 v10, 0xba0c, v31 op_sel_hi:[0,1]
	v_bfi_b32 v12, 0xffff, v13, v12
	v_mul_f16_e32 v121, 0xb08e, v102
	v_add_f16_e32 v24, v33, v24
	v_add_f16_e32 v33, v49, v116
	v_mul_f16_e32 v57, 0x3abb, v36
	v_mul_f16_e32 v122, 0x3abb, v102
	v_mul_f16_e32 v123, 0xbbad, v36
	v_mul_f16_e32 v102, 0xbbad, v102
	v_add_f16_e32 v55, v61, v55
	v_add_f16_e32 v61, v96, v98
	;; [unrolled: 1-line block ×3, first 2 shown]
	v_sub_f16_e32 v58, v119, v94
	v_add_f16_e32 v46, v52, v46
	v_add_f16_e32 v52, v59, v118
	;; [unrolled: 1-line block ×3, first 2 shown]
	v_sub_f16_e32 v44, v117, v53
	v_pk_add_f16 v9, v14, v9
	v_pk_add_f16 v11, v11, v7
	v_bfi_b32 v14, 0xffff, v18, v16
	v_pk_fma_f16 v13, 0xb93d, v30, v10 op_sel:[0,0,1] op_sel_hi:[0,1,0] neg_lo:[0,0,1] neg_hi:[0,0,1]
	v_pk_fma_f16 v10, 0xb93d, v30, v10 op_sel:[0,0,1] op_sel_hi:[0,1,0]
	v_pk_mul_f16 v19, 0x3b47, v34 op_sel_hi:[0,1]
	v_pk_add_f16 v7, v12, v7
	v_bfi_b32 v12, 0xffff, v16, v18
	v_mul_f16_e32 v124, 0x3abb, v105
	v_add_f16_e32 v24, v33, v24
	v_add_f16_e32 v33, v54, v121
	v_mul_f16_e32 v125, 0xb93d, v45
	v_mul_f16_e32 v96, 0xb93d, v105
	;; [unrolled: 1-line block ×3, first 2 shown]
	v_add_f16_e32 v55, v61, v55
	v_add_f16_e32 v61, v103, v102
	v_mul_f16_e32 v102, 0x36a6, v105
	v_add_f16_e32 v51, v58, v51
	v_sub_f16_e32 v58, v123, v99
	v_add_f16_e32 v46, v52, v46
	v_add_f16_e32 v52, v95, v122
	;; [unrolled: 1-line block ×3, first 2 shown]
	v_sub_f16_e32 v44, v57, v60
	v_pk_add_f16 v11, v14, v11
	v_bfi_b32 v14, 0xffff, v13, v10
	v_pk_fma_f16 v16, 0x36a6, v36, v19 op_sel:[0,0,1] op_sel_hi:[0,1,0] neg_lo:[0,0,1] neg_hi:[0,0,1]
	v_pk_fma_f16 v18, 0x36a6, v36, v19 op_sel:[0,0,1] op_sel_hi:[0,1,0]
	v_pk_mul_f16 v19, 0xbbeb, v40 op_sel_hi:[0,1]
	v_pk_add_f16 v7, v12, v7
	v_bfi_b32 v10, 0xffff, v10, v13
	v_add_f16_e32 v24, v33, v24
	v_add_f16_e32 v33, v100, v124
	;; [unrolled: 1-line block ×5, first 2 shown]
	v_sub_f16_e32 v22, v98, v22
	v_add_f16_e32 v46, v52, v46
	v_add_f16_e32 v42, v104, v96
	;; [unrolled: 1-line block ×3, first 2 shown]
	v_sub_f16_e32 v37, v125, v101
	v_pk_add_f16 v11, v14, v11
	v_bfi_b32 v12, 0xffff, v16, v18
	v_pk_fma_f16 v13, 0xb08e, v45, v19 op_sel:[0,0,1] op_sel_hi:[0,1,0] neg_lo:[0,0,1] neg_hi:[0,0,1]
	v_pk_fma_f16 v14, 0xb08e, v45, v19 op_sel:[0,0,1] op_sel_hi:[0,1,0]
	v_pk_add_f16 v7, v10, v7
	v_bfi_b32 v10, 0xffff, v18, v16
	v_add_f16_e32 v23, v33, v24
	v_add_f16_e32 v55, v61, v55
	;; [unrolled: 1-line block ×5, first 2 shown]
	v_pk_add_f16 v11, v12, v11
	v_bfi_b32 v12, 0xffff, v13, v14
	v_pk_add_f16 v7, v10, v7
	v_bfi_b32 v10, 0xffff, v14, v13
	v_lshlrev_b32_e32 v17, 2, v91
	v_pk_add_f16 v8, v25, v8
	v_alignbit_b32 v16, v23, v9, 16
	v_pack_b32_f16 v9, v15, v9
	v_pack_b32_f16 v13, v22, v55
	;; [unrolled: 1-line block ×3, first 2 shown]
	v_pk_add_f16 v11, v12, v11
	v_pk_add_f16 v7, v10, v7
	v_perm_b32 v10, v89, v3, 0x5040100
	v_perm_b32 v12, v90, v6, 0x5040100
	;; [unrolled: 1-line block ×4, first 2 shown]
	ds_store_b32 v17, v8
	ds_store_2addr_b32 v17, v9, v16 offset0:1 offset1:2
	ds_store_2addr_b32 v17, v14, v13 offset0:3 offset1:4
	;; [unrolled: 1-line block ×5, first 2 shown]
.LBB0_7:
	s_wait_alu 0xfffe
	s_or_b32 exec_lo, exec_lo, s2
	v_and_b32_e32 v38, 0xff, v79
	v_add_nc_u32_e32 v31, 0x18c, v79
	v_add_nc_u32_e32 v32, 0x1ef, v79
	v_and_b32_e32 v39, 0xff, v5
	v_add_co_u32 v41, null, 0xc6, v79
	v_mul_lo_u16 v7, 0x75, v38
	v_and_b32_e32 v34, 0xffff, v31
	v_and_b32_e32 v35, 0xffff, v32
	v_mul_lo_u16 v8, 0x75, v39
	v_and_b32_e32 v37, 0xffff, v41
	v_lshrrev_b16 v7, 8, v7
	v_mul_u32_u24_e32 v9, 0xba2f, v34
	v_mul_u32_u24_e32 v11, 0xba2f, v35
	v_lshrrev_b16 v8, 8, v8
	v_add_nc_u32_e32 v33, 0x129, v79
	v_sub_nc_u16 v10, v79, v7
	v_lshrrev_b32_e32 v46, 19, v9
	v_lshrrev_b32_e32 v93, 19, v11
	global_wb scope:SCOPE_SE
	s_wait_dscnt 0x0
	v_and_b32_e32 v36, 0xffff, v33
	v_lshrrev_b16 v9, 1, v10
	v_sub_nc_u16 v10, v5, v8
	v_mul_lo_u16 v12, v93, 11
	v_mul_lo_u16 v11, v46, 11
	s_barrier_signal -1
	v_and_b32_e32 v9, 0x7f, v9
	v_lshrrev_b16 v10, 1, v10
	v_sub_nc_u16 v95, v32, v12
	v_sub_nc_u16 v94, v31, v11
	s_barrier_wait -1
	v_add_nc_u16 v7, v9, v7
	v_and_b32_e32 v9, 0x7f, v10
	v_lshlrev_b16 v11, 1, v95
	v_lshlrev_b16 v10, 1, v94
	global_inv scope:SCOPE_SE
	v_lshrrev_b16 v96, 3, v7
	v_mul_u32_u24_e32 v7, 0xba2f, v37
	v_add_nc_u16 v8, v9, v8
	v_and_b32_e32 v11, 0xffff, v11
	v_and_b32_e32 v9, 0xffff, v10
	v_mul_lo_u16 v12, v96, 11
	v_lshrrev_b32_e32 v98, 19, v7
	v_lshrrev_b16 v99, 3, v8
	v_lshlrev_b32_e32 v8, 2, v11
	v_mul_u32_u24_e32 v10, 0xba2f, v36
	v_lshlrev_b32_e32 v7, 2, v9
	v_mul_lo_u16 v11, v98, 11
	v_mul_lo_u16 v13, v99, 11
	v_mul_u32_u24_e32 v40, 0xf83f, v37
	v_lshrrev_b32_e32 v100, 19, v10
	global_load_b64 v[9:10], v7, s[0:1]
	v_sub_nc_u16 v104, v41, v11
	v_sub_nc_u16 v11, v79, v12
	;; [unrolled: 1-line block ×3, first 2 shown]
	v_mul_lo_u16 v14, v100, 11
	v_mul_u32_u24_e32 v47, 0xf83f, v36
	v_lshlrev_b16 v13, 1, v104
	v_and_b32_e32 v106, 0xff, v11
	v_and_b32_e32 v107, 0xff, v12
	v_sub_nc_u16 v105, v33, v14
	v_mul_u32_u24_e32 v48, 0xf83f, v34
	v_and_b32_e32 v12, 0xffff, v13
	v_lshlrev_b32_e32 v13, 3, v106
	v_lshlrev_b32_e32 v14, 3, v107
	v_lshlrev_b16 v11, 1, v105
	v_lshrrev_b32_e32 v40, 21, v40
	v_lshlrev_b32_e32 v12, 2, v12
	s_clause 0x1
	global_load_b64 v[17:18], v13, s[0:1]
	global_load_b64 v[7:8], v8, s[0:1]
	v_and_b32_e32 v11, 0xffff, v11
	v_add_nc_u32_e32 v53, 0x800, v63
	v_add_nc_u32_e32 v55, 0x400, v63
	v_mul_u32_u24_e32 v49, 0xf83f, v35
	v_lshrrev_b32_e32 v47, 21, v47
	v_lshlrev_b32_e32 v11, 2, v11
	s_clause 0x2
	global_load_b64 v[15:16], v14, s[0:1]
	global_load_b64 v[13:14], v12, s[0:1]
	;; [unrolled: 1-line block ×3, first 2 shown]
	v_add_nc_u32_e32 v58, 0x1200, v63
	v_add_nc_u32_e32 v57, 0xe00, v63
	;; [unrolled: 1-line block ×5, first 2 shown]
	v_lshrrev_b32_e32 v48, 21, v48
	v_mul_lo_u16 v52, v40, 33
	v_add_nc_u32_e32 v61, 0x1400, v63
	ds_load_2addr_b32 v[19:20], v63 offset1:99
	ds_load_2addr_b32 v[23:24], v53 offset0:82 offset1:181
	ds_load_2addr_b32 v[25:26], v58 offset0:36 offset1:135
	;; [unrolled: 1-line block ×8, first 2 shown]
	v_lshrrev_b32_e32 v49, 21, v49
	v_mul_lo_u16 v60, v47, 33
	v_mul_lo_u16 v62, v48, 33
	v_sub_nc_u16 v52, v41, v52
	v_mad_u16 v98, v98, 33, v104
	v_mul_lo_u16 v101, v49, 33
	v_sub_nc_u16 v60, v33, v60
	v_mad_u16 v46, v46, 33, v94
	v_sub_nc_u16 v62, v31, v62
	v_lshlrev_b16 v94, 3, v52
	v_sub_nc_u16 v101, v32, v101
	v_mad_u16 v93, v93, 33, v95
	v_lshlrev_b16 v95, 3, v60
	v_and_b32_e32 v98, 0xffff, v98
	v_and_b32_e32 v46, 0xffff, v46
	;; [unrolled: 1-line block ×4, first 2 shown]
	v_lshlrev_b16 v104, 3, v62
	v_and_b32_e32 v108, 0xffff, v94
	v_mad_u16 v100, v100, 33, v105
	v_lshlrev_b16 v105, 3, v101
	v_and_b32_e32 v109, 0xffff, v95
	v_lshlrev_b32_e32 v96, 2, v98
	v_lshlrev_b32_e32 v94, 2, v46
	v_mul_u32_u24_e32 v46, 33, v115
	v_mul_u32_u24_e32 v98, 33, v99
	v_and_b32_e32 v114, 0xffff, v104
	v_add_co_u32 v104, s2, s0, v108
	s_wait_dscnt 0x1
	v_lshrrev_b32_e32 v110, 16, v44
	s_wait_dscnt 0x0
	v_lshrrev_b32_e32 v111, 16, v102
	v_lshrrev_b32_e32 v112, 16, v45
	;; [unrolled: 1-line block ×3, first 2 shown]
	v_and_b32_e32 v100, 0xffff, v100
	v_and_b32_e32 v138, 0xffff, v105
	s_wait_alu 0xf1ff
	v_add_co_ci_u32_e64 v105, null, s1, 0, s2
	v_add_co_u32 v118, s2, s0, v109
	v_add_lshl_u32 v99, v46, v106, 2
	v_add_lshl_u32 v98, v98, v107, 2
	v_lshlrev_b32_e32 v95, 2, v100
	s_wait_alu 0xf1ff
	v_add_co_ci_u32_e64 v119, null, s1, 0, s2
	v_add_co_u32 v120, s2, s0, v114
	v_lshrrev_b32_e32 v124, 16, v23
	v_lshrrev_b32_e32 v125, 16, v25
	;; [unrolled: 1-line block ×10, first 2 shown]
	v_mul_lo_u16 v38, 0xf9, v38
	v_mul_lo_u16 v39, 0xf9, v39
	v_lshrrev_b32_e32 v122, 16, v19
	v_lshrrev_b32_e32 v128, 16, v21
	v_lshrrev_b32_e32 v131, 16, v22
	v_lshrrev_b16 v38, 13, v38
	v_lshrrev_b16 v39, 13, v39
	v_lshrrev_b32_e32 v123, 16, v20
	v_and_b32_e32 v93, 0xffff, v93
	s_wait_alu 0xf1ff
	v_add_co_ci_u32_e64 v121, null, s1, 0, s2
	v_mul_lo_u16 v50, v38, 33
	v_mul_lo_u16 v51, v39, 33
	v_lshlrev_b32_e32 v93, 2, v93
	global_wb scope:SCOPE_SE
	s_wait_loadcnt 0x0
	s_barrier_signal -1
	v_sub_nc_u16 v50, v79, v50
	v_sub_nc_u16 v51, v5, v51
	s_barrier_wait -1
	global_inv scope:SCOPE_SE
	v_mul_u32_u24_e32 v37, 0xa57f, v37
	v_and_b32_e32 v50, 0xff, v50
	v_and_b32_e32 v51, 0xff, v51
	v_mul_u32_u24_e32 v36, 0xa57f, v36
	v_mul_u32_u24_e32 v34, 0xa57f, v34
	;; [unrolled: 1-line block ×3, first 2 shown]
	v_lshlrev_b32_e32 v136, 3, v50
	v_lshlrev_b32_e32 v137, 3, v51
	v_lshrrev_b32_e32 v37, 22, v37
	v_lshrrev_b32_e32 v36, 22, v36
	;; [unrolled: 1-line block ×4, first 2 shown]
	v_and_b32_e32 v38, 0xffff, v38
	v_mul_lo_u16 v37, 0x63, v37
	v_mul_lo_u16 v36, 0x63, v36
	;; [unrolled: 1-line block ×4, first 2 shown]
	v_and_b32_e32 v39, 0xffff, v39
	v_mul_u32_u24_e32 v38, 0x63, v38
	v_lshlrev_b32_e32 v5, 3, v5
	s_delay_alu instid0(VALU_DEP_3) | instskip(SKIP_2) | instid1(VALU_DEP_2)
	v_mul_u32_u24_e32 v39, 0x63, v39
	v_lshrrev_b32_e32 v109, 16, v9
	v_lshrrev_b32_e32 v108, 16, v10
	v_mul_f16_e32 v46, v110, v109
	v_mul_f16_e32 v100, v44, v109
	s_delay_alu instid0(VALU_DEP_3) | instskip(SKIP_1) | instid1(VALU_DEP_4)
	v_mul_f16_e32 v114, v111, v108
	v_mul_f16_e64 v139, v102, v108
	v_fma_f16 v44, v44, v9, -v46
	s_delay_alu instid0(VALU_DEP_4) | instskip(NEXT) | instid1(VALU_DEP_4)
	v_fmac_f16_e32 v100, v110, v9
	v_fma_f16 v46, v102, v10, -v114
	s_delay_alu instid0(VALU_DEP_4) | instskip(NEXT) | instid1(VALU_DEP_3)
	v_fmac_f16_e64 v139, v111, v10
	v_add_f16_e64 v144, v134, v100
	v_lshrrev_b32_e32 v117, 16, v17
	v_lshrrev_b32_e32 v107, 16, v7
	;; [unrolled: 1-line block ×3, first 2 shown]
	v_sub_f16_e64 v143, v100, v139
	v_add_f16_e64 v100, v100, v139
	v_mul_f16_e64 v149, v124, v117
	v_mul_f16_e32 v115, v112, v107
	v_mul_f16_e64 v140, v45, v107
	v_mul_f16_e32 v116, v113, v106
	v_mul_f16_e64 v141, v103, v106
	v_lshrrev_b32_e32 v114, 16, v16
	v_fma_f16 v45, v45, v7, -v115
	v_fmac_f16_e64 v140, v112, v7
	v_fma_f16 v102, v103, v8, -v116
	v_fmac_f16_e64 v141, v113, v8
	v_lshrrev_b32_e32 v116, 16, v18
	v_lshrrev_b32_e32 v115, 16, v15
	;; [unrolled: 1-line block ×6, first 2 shown]
	v_add_f16_e32 v103, v42, v44
	v_add_f16_e64 v145, v43, v45
	v_sub_f16_e64 v147, v140, v141
	v_add_f16_e64 v148, v135, v140
	v_add_f16_e64 v140, v140, v141
	v_mul_f16_e64 v150, v23, v117
	v_mul_f16_e64 v151, v125, v116
	;; [unrolled: 1-line block ×11, first 2 shown]
	v_add_f16_e64 v142, v44, v46
	v_sub_f16_e32 v44, v44, v46
	v_add_f16_e64 v146, v45, v102
	v_sub_f16_e32 v45, v45, v102
	v_mul_f16_e64 v161, v132, v111
	v_mul_f16_e64 v162, v28, v111
	;; [unrolled: 1-line block ×4, first 2 shown]
	v_add_f16_e32 v46, v103, v46
	v_add_f16_e64 v103, v144, v139
	v_fmac_f16_e64 v134, -0.5, v100
	v_add_f16_e64 v100, v145, v102
	v_add_f16_e64 v102, v148, v141
	v_fmac_f16_e64 v135, -0.5, v140
	v_fma_f16 v23, v23, v17, -v149
	v_fmac_f16_e64 v150, v124, v17
	v_fma_f16 v25, v25, v18, -v151
	v_fmac_f16_e64 v152, v125, v18
	;; [unrolled: 2-line block ×6, first 2 shown]
	v_fma_f16 v42, -0.5, v142, v42
	v_fmac_f16_e64 v43, -0.5, v146
	v_fma_f16 v28, v28, v11, -v161
	v_fmac_f16_e64 v162, v132, v11
	v_fma_f16 v30, v30, v12, -v163
	v_fmac_f16_e64 v164, v133, v12
	v_fma_f16 v126, 0xbaee, v45, v135
	v_fmac_f16_e64 v135, 0x3aee, v45
	v_pack_b32_f16 v45, v46, v103
	v_pack_b32_f16 v46, v100, v102
	v_add_f16_e32 v102, v23, v25
	v_add_f16_e64 v129, v150, v152
	v_add_f16_e64 v132, v24, v26
	;; [unrolled: 1-line block ×5, first 2 shown]
	v_fma_f16 v124, 0x3aee, v143, v42
	v_fma_f16 v125, 0xbaee, v44, v134
	v_fmac_f16_e64 v134, 0x3aee, v44
	v_fma_f16 v44, 0x3aee, v147, v43
	v_fmac_f16_e64 v43, 0xbaee, v147
	v_add_f16_e32 v100, v19, v23
	v_sub_f16_e64 v103, v150, v152
	v_add_f16_e64 v127, v122, v150
	v_sub_f16_e32 v23, v23, v25
	v_add_f16_e64 v141, v21, v27
	v_add_f16_e64 v144, v128, v158
	;; [unrolled: 1-line block ×6, first 2 shown]
	v_fma_f16 v19, -0.5, v102, v19
	v_fmac_f16_e64 v122, -0.5, v129
	v_add_f16_e64 v130, v20, v24
	v_sub_f16_e64 v133, v154, v156
	v_add_f16_e64 v139, v123, v154
	v_sub_f16_e32 v24, v24, v26
	v_fmac_f16_e64 v20, -0.5, v132
	v_fmac_f16_e64 v123, -0.5, v140
	v_fmac_f16_e64 v42, 0xbaee, v143
	v_sub_f16_e64 v143, v158, v160
	v_sub_f16_e32 v27, v27, v29
	v_fma_f16 v21, -0.5, v142, v21
	v_fmac_f16_e64 v128, -0.5, v145
	v_sub_f16_e64 v148, v162, v164
	v_sub_f16_e32 v28, v28, v30
	v_pack_b32_f16 v124, v124, v125
	v_pack_b32_f16 v44, v44, v126
	v_add_f16_e32 v25, v100, v25
	v_add_f16_e64 v100, v127, v152
	v_add_f16_e64 v29, v141, v29
	;; [unrolled: 1-line block ×4, first 2 shown]
	v_fmac_f16_e64 v22, -0.5, v147
	v_add_f16_e64 v126, v149, v164
	v_fmac_f16_e64 v131, -0.5, v150
	v_fmamk_f16 v127, v103, 0x3aee, v19
	v_fmac_f16_e32 v19, 0xbaee, v103
	v_fmamk_f16 v103, v23, 0xbaee, v122
	v_fmac_f16_e32 v122, 0x3aee, v23
	v_add_f16_e64 v26, v130, v26
	v_add_f16_e64 v102, v139, v156
	v_fma_f16 v23, 0x3aee, v133, v20
	v_fma_f16 v129, 0xbaee, v24, v123
	v_fmac_f16_e64 v20, 0xbaee, v133
	v_fmac_f16_e32 v123, 0x3aee, v24
	v_fma_f16 v24, 0x3aee, v143, v21
	v_fma_f16 v130, 0xbaee, v27, v128
	v_fmac_f16_e64 v21, 0xbaee, v143
	v_fmac_f16_e64 v128, 0x3aee, v27
	v_fma_f16 v27, 0x3aee, v148, v22
	v_fmac_f16_e64 v22, 0xbaee, v148
	v_fma_f16 v132, 0xbaee, v28, v131
	v_fmac_f16_e64 v131, 0x3aee, v28
	v_pack_b32_f16 v25, v25, v100
	v_pack_b32_f16 v28, v29, v125
	;; [unrolled: 1-line block ×14, first 2 shown]
	ds_store_2addr_b32 v99, v25, v30 offset1:11
	ds_store_b32 v99, v19 offset:88
	ds_store_2addr_b32 v98, v26, v23 offset1:11
	ds_store_b32 v98, v20 offset:88
	ds_store_2addr_b32 v96, v28, v24 offset1:11
	ds_store_b32 v96, v21 offset:88
	ds_store_2addr_b32 v95, v29, v27 offset1:11
	ds_store_b32 v95, v22 offset:88
	ds_store_2addr_b32 v94, v45, v124 offset1:11
	ds_store_b32 v94, v42 offset:88
	ds_store_2addr_b32 v93, v46, v44 offset1:11
	ds_store_b32 v93, v43 offset:88
	v_add_co_u32 v19, s2, s0, v138
	global_wb scope:SCOPE_SE
	s_wait_dscnt 0x0
	s_barrier_signal -1
	s_barrier_wait -1
	global_inv scope:SCOPE_SE
	s_clause 0x2
	global_load_b64 v[29:30], v136, s[0:1] offset:88
	global_load_b64 v[27:28], v137, s[0:1] offset:88
	global_load_b64 v[25:26], v[104:105], off offset:88
	s_wait_alu 0xf1ff
	v_add_co_ci_u32_e64 v20, null, s1, 0, s2
	s_clause 0x2
	global_load_b64 v[23:24], v[118:119], off offset:88
	global_load_b64 v[21:22], v[120:121], off offset:88
	global_load_b64 v[19:20], v[19:20], off offset:88
	v_sub_nc_u16 v46, v41, v37
	v_sub_nc_u16 v43, v33, v36
	;; [unrolled: 1-line block ×4, first 2 shown]
	v_mad_u16 v31, 0x63, v40, v52
	v_mad_u16 v33, 0x63, v48, v62
	v_mad_u16 v34, 0x63, v49, v101
	v_lshlrev_b16 v35, 3, v46
	v_add_lshl_u32 v104, v38, v50, 2
	v_mad_u16 v32, 0x63, v47, v60
	v_lshlrev_b16 v36, 3, v43
	v_lshlrev_b16 v37, 3, v44
	;; [unrolled: 1-line block ×3, first 2 shown]
	v_and_b32_e32 v31, 0xffff, v31
	v_and_b32_e32 v33, 0xffff, v33
	;; [unrolled: 1-line block ×4, first 2 shown]
	v_add_lshl_u32 v100, v39, v51, 2
	v_and_b32_e32 v32, 0xffff, v32
	v_and_b32_e32 v39, 0xffff, v36
	;; [unrolled: 1-line block ×4, first 2 shown]
	v_lshlrev_b32_e32 v105, 2, v31
	v_lshlrev_b32_e32 v102, 2, v33
	;; [unrolled: 1-line block ×3, first 2 shown]
	v_add_co_u32 v31, s2, s0, v35
	ds_load_2addr_b32 v[33:34], v63 offset1:99
	ds_load_2addr_b32 v[35:36], v53 offset0:82 offset1:181
	ds_load_2addr_b32 v[37:38], v58 offset0:36 offset1:135
	v_lshlrev_b32_e32 v103, 2, v32
	s_wait_alu 0xf1ff
	v_add_co_ci_u32_e64 v32, null, s1, 0, s2
	v_add_co_u32 v47, s2, s0, v39
	ds_load_2addr_b32 v[39:40], v56 offset0:70 offset1:169
	ds_load_2addr_b32 v[49:50], v54 offset0:24 offset1:123
	;; [unrolled: 1-line block ×6, first 2 shown]
	s_wait_alu 0xf1ff
	v_add_co_ci_u32_e64 v48, null, s1, 0, s2
	v_add_co_u32 v136, s2, s0, v60
	v_lshlrev_b32_e32 v42, 3, v79
	global_wb scope:SCOPE_SE
	s_wait_loadcnt_dscnt 0x0
	s_barrier_signal -1
	s_barrier_wait -1
	global_inv scope:SCOPE_SE
	s_wait_alu 0xf1ff
	v_add_co_ci_u32_e64 v137, null, s1, 0, s2
	v_lshrrev_b32_e32 v60, 16, v33
	v_lshrrev_b32_e32 v138, 16, v35
	;; [unrolled: 1-line block ×18, first 2 shown]
	v_and_b32_e32 v46, 0xffff, v46
	v_lshlrev_b32_e32 v41, 3, v41
	v_lshrrev_b32_e32 v133, 16, v29
	v_lshrrev_b32_e32 v132, 16, v30
	;; [unrolled: 1-line block ×12, first 2 shown]
	v_mul_f16_e64 v155, v138, v133
	v_mul_f16_e64 v156, v35, v133
	v_mul_f16_e64 v157, v139, v132
	v_mul_f16_e64 v158, v37, v132
	v_mul_f16_e64 v159, v141, v131
	v_mul_f16_e64 v160, v36, v131
	v_mul_f16_e64 v161, v142, v130
	v_mul_f16_e64 v162, v38, v130
	v_mul_f16_e64 v163, v144, v129
	v_mul_f16_e64 v164, v49, v129
	v_mul_f16_e64 v165, v145, v124
	v_mul_f16_e64 v166, v51, v124
	v_mul_f16_e64 v167, v147, v123
	v_mul_f16_e64 v168, v50, v123
	v_mul_f16_e64 v169, v148, v122
	v_mul_f16_e64 v170, v52, v122
	v_mul_f16_e64 v171, v150, v121
	v_mul_f16_e64 v172, v127, v121
	v_mul_f16_e64 v173, v151, v120
	v_mul_f16_e64 v174, v134, v120
	v_mul_f16_e64 v175, v153, v119
	v_mul_f16_e64 v176, v128, v119
	v_mul_f16_e64 v177, v154, v118
	v_mul_f16_e64 v178, v135, v118
	v_fma_f16 v35, v35, v29, -v155
	v_fma_f16 v37, v37, v30, -v157
	v_fmac_f16_e64 v156, v138, v29
	v_fmac_f16_e64 v158, v139, v30
	v_fma_f16 v36, v36, v27, -v159
	v_fma_f16 v38, v38, v28, -v161
	v_fmac_f16_e64 v160, v141, v27
	v_fmac_f16_e64 v162, v142, v28
	v_fma_f16 v49, v49, v25, -v163
	v_fmac_f16_e64 v164, v144, v25
	v_fma_f16 v51, v51, v26, -v165
	;; [unrolled: 2-line block ×8, first 2 shown]
	v_fmac_f16_e64 v178, v154, v20
	v_add_f16_e64 v139, v35, v37
	v_add_f16_e64 v144, v156, v158
	;; [unrolled: 1-line block ×4, first 2 shown]
	v_sub_f16_e64 v141, v156, v158
	v_add_f16_e64 v142, v60, v156
	v_sub_f16_e64 v148, v160, v162
	v_add_f16_e64 v150, v140, v160
	v_add_f16_e64 v154, v49, v51
	v_sub_f16_e64 v155, v164, v166
	v_add_f16_e64 v156, v143, v164
	v_add_f16_e64 v157, v164, v166
	;; [unrolled: 1-line block ×5, first 2 shown]
	v_sub_f16_e32 v35, v35, v37
	v_add_f16_e64 v145, v34, v36
	v_sub_f16_e64 v161, v168, v170
	v_add_f16_e64 v163, v146, v168
	v_add_f16_e64 v165, v125, v127
	;; [unrolled: 1-line block ×3, first 2 shown]
	v_sub_f16_e64 v168, v172, v174
	v_add_f16_e64 v169, v149, v172
	v_add_f16_e64 v171, v172, v174
	;; [unrolled: 1-line block ×4, first 2 shown]
	v_sub_f16_e64 v175, v176, v178
	v_add_f16_e64 v177, v152, v176
	v_add_f16_e64 v176, v176, v178
	v_fmac_f16_e64 v60, -0.5, v144
	v_fma_f16 v33, -0.5, v139, v33
	v_sub_f16_e32 v36, v36, v38
	v_fmac_f16_e64 v34, -0.5, v147
	v_fmac_f16_e64 v140, -0.5, v151
	v_add_f16_e64 v153, v39, v49
	v_sub_f16_e32 v49, v49, v51
	v_add_f16_e64 v159, v40, v50
	v_sub_f16_e32 v50, v50, v52
	v_fma_f16 v39, -0.5, v154, v39
	v_fmac_f16_e64 v143, -0.5, v157
	v_fmac_f16_e64 v40, -0.5, v160
	;; [unrolled: 1-line block ×3, first 2 shown]
	v_sub_f16_e64 v127, v127, v134
	v_sub_f16_e64 v128, v128, v135
	v_add_f16_e64 v37, v138, v37
	v_add_f16_e64 v138, v142, v158
	;; [unrolled: 1-line block ×5, first 2 shown]
	v_fma_f16 v125, -0.5, v167, v125
	v_add_f16_e64 v145, v169, v174
	v_fmac_f16_e64 v149, -0.5, v171
	v_add_f16_e64 v135, v172, v135
	v_fmac_f16_e64 v126, -0.5, v173
	;; [unrolled: 2-line block ×3, first 2 shown]
	v_fma_f16 v150, 0x3aee, v141, v33
	v_fmac_f16_e64 v33, 0xbaee, v141
	v_fma_f16 v141, 0xbaee, v35, v60
	v_fmac_f16_e32 v60, 0x3aee, v35
	v_fma_f16 v35, 0x3aee, v148, v34
	v_fmac_f16_e64 v34, 0xbaee, v148
	v_fma_f16 v148, 0xbaee, v36, v140
	v_fmac_f16_e64 v140, 0x3aee, v36
	v_add_f16_e64 v51, v153, v51
	v_add_f16_e64 v139, v156, v166
	v_fma_f16 v36, 0x3aee, v155, v39
	v_fmac_f16_e64 v39, 0xbaee, v155
	v_fma_f16 v151, 0xbaee, v49, v143
	v_fmac_f16_e64 v143, 0x3aee, v49
	;; [unrolled: 2-line block ×4, first 2 shown]
	v_add_f16_e64 v52, v159, v52
	v_add_f16_e64 v144, v163, v170
	v_fma_f16 v50, 0x3aee, v168, v125
	v_fmac_f16_e64 v125, 0xbaee, v168
	v_fma_f16 v154, 0xbaee, v127, v149
	v_fmac_f16_e64 v149, 0x3aee, v127
	;; [unrolled: 2-line block ×4, first 2 shown]
	v_pack_b32_f16 v37, v37, v138
	v_pack_b32_f16 v128, v134, v145
	;; [unrolled: 1-line block ×18, first 2 shown]
	ds_store_2addr_b32 v104, v37, v135 offset1:33
	ds_store_b32 v104, v33 offset:264
	ds_store_2addr_b32 v100, v38, v35 offset1:33
	ds_store_b32 v100, v34 offset:264
	;; [unrolled: 2-line block ×6, first 2 shown]
	global_wb scope:SCOPE_SE
	s_wait_dscnt 0x0
	s_barrier_signal -1
	s_barrier_wait -1
	global_inv scope:SCOPE_SE
	global_load_b64 v[39:40], v42, s[0:1] offset:352
	v_add_co_u32 v49, s2, s0, v62
	s_wait_alu 0xf1ff
	v_add_co_ci_u32_e64 v50, null, s1, 0, s2
	s_clause 0x3
	global_load_b64 v[37:38], v[31:32], off offset:352
	global_load_b64 v[35:36], v[47:48], off offset:352
	;; [unrolled: 1-line block ×4, first 2 shown]
	v_and_b32_e32 v49, 0xffff, v43
	v_and_b32_e32 v50, 0xffff, v44
	;; [unrolled: 1-line block ×3, first 2 shown]
	v_lshlrev_b32_e32 v125, 2, v46
	ds_load_2addr_b32 v[43:44], v63 offset1:99
	ds_load_2addr_b32 v[45:46], v53 offset0:82 offset1:181
	ds_load_2addr_b32 v[47:48], v58 offset0:36 offset1:135
	v_lshlrev_b32_e32 v126, 2, v49
	v_lshlrev_b32_e32 v127, 2, v50
	;; [unrolled: 1-line block ×3, first 2 shown]
	ds_load_2addr_b32 v[49:50], v54 offset0:24 offset1:123
	ds_load_2addr_b32 v[51:52], v61 offset0:106 offset1:205
	;; [unrolled: 1-line block ×6, first 2 shown]
	v_add_nc_u32_e32 v60, 0x800, v125
	v_add_nc_u32_e32 v62, 0xc00, v126
	;; [unrolled: 1-line block ×4, first 2 shown]
	global_wb scope:SCOPE_SE
	s_wait_loadcnt_dscnt 0x0
	s_barrier_signal -1
	s_barrier_wait -1
	global_inv scope:SCOPE_SE
	v_lshrrev_b32_e32 v154, 16, v43
	v_lshrrev_b32_e32 v155, 16, v45
	;; [unrolled: 1-line block ×28, first 2 shown]
	v_mul_f16_e64 v172, v155, v143
	v_mul_f16_e64 v173, v45, v143
	;; [unrolled: 1-line block ×24, first 2 shown]
	v_fma_f16 v45, v45, v39, -v172
	v_fma_f16 v47, v47, v40, -v174
	v_fmac_f16_e64 v173, v155, v39
	v_fmac_f16_e64 v175, v156, v40
	v_fma_f16 v46, v46, v39, -v176
	v_fma_f16 v48, v48, v40, -v178
	v_fmac_f16_e64 v177, v158, v39
	v_fmac_f16_e64 v179, v159, v40
	;; [unrolled: 4-line block ×4, first 2 shown]
	v_fma_f16 v144, v144, v33, -v187
	v_fma_f16 v145, v145, v31, -v188
	v_fmac_f16_e64 v190, v164, v33
	v_fma_f16 v148, v148, v34, -v192
	v_fmac_f16_e64 v193, v168, v34
	v_fmac_f16_e64 v191, v165, v31
	v_fma_f16 v149, v149, v32, -v194
	v_fmac_f16_e64 v195, v169, v32
	v_add_f16_e64 v156, v45, v47
	v_add_f16_e64 v160, v173, v175
	;; [unrolled: 1-line block ×6, first 2 shown]
	v_sub_f16_e64 v158, v173, v175
	v_add_f16_e64 v159, v154, v173
	v_sub_f16_e64 v163, v177, v179
	v_add_f16_e64 v164, v157, v177
	;; [unrolled: 2-line block ×3, first 2 shown]
	v_add_f16_e64 v177, v50, v52
	v_add_f16_e64 v181, v185, v189
	;; [unrolled: 1-line block ×3, first 2 shown]
	v_sub_f16_e32 v45, v45, v47
	v_add_f16_e64 v178, v167, v185
	v_sub_f16_e64 v180, v185, v189
	v_add_f16_e64 v182, v150, v144
	v_add_f16_e64 v184, v144, v148
	;; [unrolled: 1-line block ×4, first 2 shown]
	v_sub_f16_e64 v187, v190, v193
	v_add_f16_e64 v188, v151, v145
	v_add_f16_e64 v190, v145, v149
	;; [unrolled: 1-line block ×4, first 2 shown]
	v_fmac_f16_e64 v154, -0.5, v160
	v_fma_f16 v43, -0.5, v156, v43
	v_add_f16_e64 v161, v44, v46
	v_sub_f16_e32 v46, v46, v48
	v_fmac_f16_e64 v44, -0.5, v162
	v_fmac_f16_e64 v157, -0.5, v165
	v_add_f16_e64 v168, v146, v49
	v_sub_f16_e32 v49, v49, v51
	v_fmac_f16_e64 v166, -0.5, v174
	v_fma_f16 v146, -0.5, v169, v146
	v_add_f16_e64 v176, v147, v50
	v_sub_f16_e32 v50, v50, v52
	v_fmac_f16_e64 v147, -0.5, v177
	v_fmac_f16_e64 v167, -0.5, v181
	v_sub_f16_e64 v144, v144, v148
	v_sub_f16_e64 v145, v145, v149
	;; [unrolled: 1-line block ×3, first 2 shown]
	v_add_f16_e64 v47, v155, v47
	v_add_f16_e64 v155, v159, v175
	;; [unrolled: 1-line block ×5, first 2 shown]
	v_fmac_f16_e64 v170, -0.5, v186
	v_add_f16_e64 v149, v188, v149
	v_fmac_f16_e64 v151, -0.5, v190
	v_add_f16_e64 v156, v192, v195
	v_fmac_f16_e64 v171, -0.5, v194
	v_fma_f16 v150, -0.5, v184, v150
	v_fma_f16 v164, 0x3aee, v158, v43
	v_fmac_f16_e64 v43, 0xbaee, v158
	v_fma_f16 v158, 0xbaee, v45, v154
	v_add_f16_e64 v48, v161, v48
	v_fmac_f16_e64 v154, 0x3aee, v45
	v_fma_f16 v45, 0x3aee, v163, v44
	v_fmac_f16_e64 v44, 0xbaee, v163
	v_fma_f16 v163, 0xbaee, v46, v157
	v_fmac_f16_e64 v157, 0x3aee, v46
	v_add_f16_e64 v51, v168, v51
	v_add_f16_e64 v160, v173, v183
	v_fma_f16 v46, 0x3aee, v172, v146
	v_fma_f16 v165, 0xbaee, v49, v166
	v_add_f16_e64 v52, v176, v52
	v_add_f16_e64 v161, v178, v189
	v_fmac_f16_e64 v166, 0x3aee, v49
	v_fma_f16 v49, 0x3aee, v180, v147
	v_fma_f16 v168, 0xbaee, v50, v167
	v_fmac_f16_e64 v146, 0xbaee, v172
	v_fmac_f16_e64 v147, 0xbaee, v180
	;; [unrolled: 1-line block ×3, first 2 shown]
	v_fma_f16 v50, 0x3aee, v187, v150
	v_fmac_f16_e64 v150, 0xbaee, v187
	v_fma_f16 v169, 0xbaee, v144, v170
	v_fmac_f16_e64 v170, 0x3aee, v144
	;; [unrolled: 2-line block ×4, first 2 shown]
	v_pack_b32_f16 v47, v47, v155
	v_pack_b32_f16 v145, v148, v162
	;; [unrolled: 1-line block ×18, first 2 shown]
	ds_store_2addr_b32 v63, v47, v149 offset1:99
	ds_store_2addr_b32 v56, v43, v48 offset0:70 offset1:169
	ds_store_2addr_b32 v55, v45, v44 offset0:140 offset1:239
	;; [unrolled: 1-line block ×6, first 2 shown]
	ds_store_b32 v125, v146 offset:3168
	ds_store_b32 v126, v147 offset:4356
	;; [unrolled: 1-line block ×4, first 2 shown]
	global_wb scope:SCOPE_SE
	s_wait_dscnt 0x0
	s_barrier_signal -1
	s_barrier_wait -1
	global_inv scope:SCOPE_SE
	s_clause 0x2
	global_load_b64 v[45:46], v42, s[0:1] offset:1144
	global_load_b64 v[43:44], v5, s[0:1] offset:1144
	;; [unrolled: 1-line block ×3, first 2 shown]
	ds_load_2addr_b32 v[47:48], v63 offset1:99
	ds_load_2addr_b32 v[49:50], v53 offset0:82 offset1:181
	ds_load_2addr_b32 v[51:52], v58 offset0:36 offset1:135
	;; [unrolled: 1-line block ×8, first 2 shown]
	global_wb scope:SCOPE_SE
	s_wait_loadcnt_dscnt 0x0
	s_barrier_signal -1
	s_barrier_wait -1
	global_inv scope:SCOPE_SE
	v_lshrrev_b32_e32 v5, 16, v47
	v_lshrrev_b32_e32 v60, 16, v49
	;; [unrolled: 1-line block ×24, first 2 shown]
	v_mul_f16_e64 v177, v60, v155
	v_mul_f16_e64 v178, v49, v155
	;; [unrolled: 1-line block ×24, first 2 shown]
	v_fma_f16 v49, v49, v45, -v177
	v_fmac_f16_e64 v178, v60, v45
	v_fma_f16 v51, v51, v46, -v179
	v_fmac_f16_e64 v180, v62, v46
	;; [unrolled: 2-line block ×4, first 2 shown]
	v_fma_f16 v60, v144, v41, -v185
	v_fma_f16 v144, v146, v42, -v189
	v_fmac_f16_e64 v187, v165, v41
	v_fmac_f16_e64 v191, v167, v42
	v_fma_f16 v62, v145, v45, -v186
	v_fma_f16 v145, v147, v46, -v190
	;; [unrolled: 1-line block ×6, first 2 shown]
	v_fmac_f16_e64 v188, v166, v45
	v_fmac_f16_e64 v192, v168, v46
	;; [unrolled: 1-line block ×6, first 2 shown]
	v_add_f16_e64 v156, v47, v49
	v_add_f16_e64 v157, v5, v178
	;; [unrolled: 1-line block ×8, first 2 shown]
	v_sub_f16_e64 v165, v178, v180
	v_add_f16_e64 v172, v60, v144
	v_add_f16_e64 v178, v187, v191
	v_sub_f16_e64 v168, v182, v184
	v_add_f16_e64 v177, v173, v187
	v_sub_f16_e64 v179, v187, v191
	v_add_f16_e64 v182, v62, v145
	v_add_f16_e64 v183, v174, v188
	;; [unrolled: 1-line block ×3, first 2 shown]
	v_sub_f16_e64 v186, v188, v192
	v_add_f16_e64 v187, v160, v146
	v_add_f16_e64 v188, v146, v148
	;; [unrolled: 1-line block ×4, first 2 shown]
	v_sub_f16_e64 v193, v195, v199
	v_add_f16_e64 v194, v161, v147
	v_add_f16_e64 v195, v147, v149
	;; [unrolled: 1-line block ×4, first 2 shown]
	v_sub_f16_e32 v49, v49, v51
	v_sub_f16_e32 v50, v50, v52
	v_add_f16_e64 v51, v156, v51
	v_add_f16_e64 v156, v157, v180
	;; [unrolled: 1-line block ×4, first 2 shown]
	v_fmac_f16_e64 v5, -0.5, v166
	v_fmac_f16_e64 v48, -0.5, v170
	;; [unrolled: 1-line block ×3, first 2 shown]
	v_fma_f16 v47, -0.5, v167, v47
	v_add_f16_e64 v171, v158, v60
	v_sub_f16_e64 v60, v60, v144
	v_fmac_f16_e64 v173, -0.5, v178
	v_fma_f16 v158, -0.5, v172, v158
	v_add_f16_e64 v181, v159, v62
	v_sub_f16_e64 v62, v62, v145
	v_sub_f16_e64 v146, v146, v148
	;; [unrolled: 1-line block ×4, first 2 shown]
	v_fmac_f16_e64 v159, -0.5, v182
	v_fmac_f16_e64 v174, -0.5, v185
	v_add_f16_e64 v148, v187, v148
	v_add_f16_e64 v166, v189, v199
	v_fmac_f16_e64 v175, -0.5, v190
	v_add_f16_e64 v149, v194, v149
	v_fmac_f16_e64 v161, -0.5, v195
	;; [unrolled: 2-line block ×3, first 2 shown]
	v_fma_f16 v160, -0.5, v188, v160
	v_pack_b32_f16 v51, v51, v156
	v_pack_b32_f16 v52, v52, v157
	v_fma_f16 v156, 0x3aee, v165, v47
	v_fmac_f16_e64 v47, 0xbaee, v165
	v_fma_f16 v157, 0xbaee, v49, v5
	v_fmac_f16_e32 v5, 0x3aee, v49
	v_fma_f16 v49, 0x3aee, v168, v48
	v_fmac_f16_e64 v48, 0xbaee, v168
	v_fma_f16 v165, 0xbaee, v50, v162
	v_fmac_f16_e64 v162, 0x3aee, v50
	v_add_f16_e64 v144, v171, v144
	v_add_f16_e64 v163, v177, v191
	v_fma_f16 v50, 0x3aee, v179, v158
	v_fma_f16 v167, 0xbaee, v60, v173
	v_add_f16_e64 v145, v181, v145
	v_add_f16_e64 v164, v183, v192
	v_fmac_f16_e64 v158, 0xbaee, v179
	v_fmac_f16_e64 v173, 0x3aee, v60
	v_fma_f16 v60, 0x3aee, v186, v159
	v_fma_f16 v168, 0xbaee, v62, v174
	v_fmac_f16_e64 v174, 0x3aee, v62
	v_fma_f16 v62, 0x3aee, v193, v160
	v_fmac_f16_e64 v160, 0xbaee, v193
	;; [unrolled: 2-line block ×5, first 2 shown]
	v_pack_b32_f16 v147, v148, v166
	v_pack_b32_f16 v148, v149, v169
	v_fmac_f16_e64 v159, 0xbaee, v186
	v_pack_b32_f16 v5, v47, v5
	v_pack_b32_f16 v48, v48, v162
	;; [unrolled: 1-line block ×3, first 2 shown]
	ds_store_2addr_b32 v63, v51, v52 offset1:99
	v_pack_b32_f16 v51, v156, v157
	v_pack_b32_f16 v47, v49, v165
	;; [unrolled: 1-line block ×8, first 2 shown]
	ds_store_2addr_b32 v57, v147, v148 offset0:94 offset1:193
	v_pack_b32_f16 v146, v146, v171
	v_pack_b32_f16 v147, v161, v176
	;; [unrolled: 1-line block ×3, first 2 shown]
	ds_store_2addr_b32 v53, v5, v48 offset0:82 offset1:181
	ds_store_2addr_b32 v56, v144, v51 offset0:70 offset1:169
	ds_store_2addr_b32 v55, v47, v49 offset0:140 offset1:239
	ds_store_2addr_b32 v54, v50, v145 offset0:24 offset1:123
	ds_store_2addr_b32 v58, v52, v62 offset0:36 offset1:135
	ds_store_2addr_b32 v61, v146, v60 offset0:106 offset1:205
	ds_store_2addr_b32 v59, v149, v147 offset0:48 offset1:147
	global_wb scope:SCOPE_SE
	s_wait_dscnt 0x0
	s_barrier_signal -1
	s_barrier_wait -1
	global_inv scope:SCOPE_SE
	s_clause 0x8
	global_load_b32 v144, v63, s[0:1] offset:6688
	global_load_b32 v149, v63, s[0:1] offset:4708
	;; [unrolled: 1-line block ×9, first 2 shown]
	ds_load_2addr_b32 v[47:48], v58 offset0:36 offset1:135
	ds_load_2addr_b32 v[172:173], v56 offset0:70 offset1:169
	ds_load_2addr_b32 v[175:176], v55 offset0:140 offset1:239
	ds_load_2addr_b32 v[49:50], v59 offset0:48 offset1:147
	ds_load_2addr_b32 v[177:178], v53 offset0:82 offset1:181
	ds_load_2addr_b32 v[179:180], v54 offset0:24 offset1:123
	ds_load_2addr_b32 v[51:52], v57 offset0:94 offset1:193
	ds_load_2addr_b32 v[168:169], v61 offset0:106 offset1:205
	ds_load_2addr_b32 v[181:182], v63 offset1:99
	s_add_nc_u64 s[0:1], s[12:13], 0x1bd8
	s_wait_dscnt 0x8
	v_lshrrev_b32_e32 v5, 16, v47
	v_lshrrev_b32_e32 v60, 16, v48
	s_wait_dscnt 0x7
	v_lshrrev_b32_e32 v62, 16, v173
	s_wait_dscnt 0x5
	v_lshrrev_b32_e32 v171, 16, v50
	v_lshrrev_b32_e32 v170, 16, v49
	s_wait_dscnt 0x3
	v_lshrrev_b32_e32 v193, 16, v180
	s_wait_dscnt 0x2
	;; [unrolled: 2-line block ×3, first 2 shown]
	v_lshrrev_b32_e32 v187, 16, v169
	v_lshrrev_b32_e32 v189, 16, v51
	;; [unrolled: 1-line block ×8, first 2 shown]
	s_wait_dscnt 0x0
	v_lshrrev_b32_e32 v190, 16, v182
	v_lshrrev_b32_e32 v194, 16, v181
	;; [unrolled: 1-line block ×3, first 2 shown]
	s_wait_loadcnt 0x8
	v_lshrrev_b32_e32 v159, 16, v144
	s_wait_loadcnt 0x7
	v_lshrrev_b32_e32 v164, 16, v149
	;; [unrolled: 2-line block ×9, first 2 shown]
	v_mul_f16_e64 v195, v5, v164
	v_mul_f16_e64 v196, v47, v164
	;; [unrolled: 1-line block ×18, first 2 shown]
	v_fma_f16 v47, v47, v149, -v195
	v_fmac_f16_e64 v196, v5, v149
	v_fma_f16 v5, v48, v148, -v197
	v_fmac_f16_e64 v198, v60, v148
	;; [unrolled: 2-line block ×3, first 2 shown]
	v_fma_f16 v52, v52, v156, -v204
	v_fma_f16 v48, v49, v145, -v199
	v_fmac_f16_e64 v201, v170, v145
	v_fmac_f16_e64 v202, v171, v144
	v_fmac_f16_e64 v205, v187, v146
	v_fma_f16 v60, v169, v146, -v206
	v_fma_f16 v174, v51, v157, -v207
	v_fmac_f16_e64 v208, v189, v157
	v_fma_f16 v180, v180, v158, -v211
	v_fmac_f16_e64 v212, v193, v158
	;; [unrolled: 2-line block ×3, first 2 shown]
	v_sub_f16_e64 v187, v173, v47
	v_sub_f16_e64 v189, v62, v196
	;; [unrolled: 1-line block ×18, first 2 shown]
	v_pack_b32_f16 v198, v187, v189
	v_pack_b32_f16 v199, v191, v193
	v_fma_f16 v187, v173, 2.0, -v187
	v_fma_f16 v202, v172, 2.0, -v50
	v_fma_f16 v62, v62, 2.0, -v189
	v_fma_f16 v186, v186, 2.0, -v195
	v_pack_b32_f16 v200, v49, v170
	v_pack_b32_f16 v201, v5, v169
	v_fma_f16 v52, v178, 2.0, -v49
	v_fma_f16 v48, v177, 2.0, -v51
	v_fma_f16 v174, v188, 2.0, -v171
	v_fma_f16 v172, v184, 2.0, -v170
	v_pack_b32_f16 v177, v50, v195
	v_pack_b32_f16 v178, v60, v196
	v_fma_f16 v50, v179, 2.0, -v5
	v_fma_f16 v60, v182, 2.0, -v60
	v_fma_f16 v179, v181, 2.0, -v180
	v_fma_f16 v181, v190, 2.0, -v196
	v_fma_f16 v182, v194, 2.0, -v197
	v_pack_b32_f16 v184, v47, v168
	v_pack_b32_f16 v188, v51, v171
	v_fma_f16 v183, v183, 2.0, -v193
	v_fma_f16 v175, v175, 2.0, -v191
	v_fma_f16 v176, v176, 2.0, -v47
	v_fma_f16 v189, v192, 2.0, -v168
	v_fma_f16 v173, v185, 2.0, -v169
	ds_store_2addr_b32 v58, v198, v199 offset0:36 offset1:135
	ds_store_2addr_b32 v59, v200, v201 offset0:48 offset1:147
	v_pack_b32_f16 v58, v202, v186
	v_pack_b32_f16 v59, v187, v62
	;; [unrolled: 1-line block ×4, first 2 shown]
	ds_store_2addr_b32 v57, v178, v177 offset0:94 offset1:193
	ds_store_2addr_b32 v61, v184, v188 offset0:106 offset1:205
	v_pack_b32_f16 v177, v179, v182
	v_pack_b32_f16 v60, v60, v181
	;; [unrolled: 1-line block ×6, first 2 shown]
	ds_store_2addr_b32 v56, v58, v59 offset0:70 offset1:169
	ds_store_2addr_b32 v53, v62, v185 offset0:82 offset1:181
	ds_store_2addr_b32 v63, v177, v60 offset1:99
	ds_store_2addr_b32 v55, v175, v176 offset0:140 offset1:239
	ds_store_2addr_b32 v54, v178, v180 offset0:24 offset1:123
	global_wb scope:SCOPE_SE
	s_wait_dscnt 0x0
	s_barrier_signal -1
	s_barrier_wait -1
	global_inv scope:SCOPE_SE
	s_clause 0xa
	global_load_b32 v56, v[0:1], off offset:7128
	global_load_b32 v58, v63, s[0:1] offset:648
	global_load_b32 v60, v63, s[0:1] offset:1944
	;; [unrolled: 1-line block ×10, first 2 shown]
	ds_load_2addr_b32 v[53:54], v63 offset1:162
	s_wait_dscnt 0x0
	v_lshrrev_b32_e32 v59, 16, v53
	v_lshrrev_b32_e32 v176, 16, v54
	s_wait_loadcnt 0xa
	v_lshrrev_b32_e32 v175, 16, v56
	s_wait_loadcnt 0x9
	;; [unrolled: 2-line block ×4, first 2 shown]
	v_lshrrev_b32_e32 v188, 16, v179
	v_mul_f16_e64 v178, v53, v175
	v_mul_f16_e64 v175, v59, v175
	;; [unrolled: 1-line block ×4, first 2 shown]
	s_wait_loadcnt 0x3
	v_lshrrev_b32_e32 v192, 16, v182
	v_fmac_f16_e64 v178, v59, v56
	v_fma_f16 v53, v53, v56, -v175
	v_fma_f16 v54, v54, v58, -v186
	v_fmac_f16_e64 v177, v176, v58
	v_add_nc_u32_e32 v56, 0xa00, v63
	v_lshrrev_b32_e32 v186, 16, v60
	v_pack_b32_f16 v53, v53, v178
	v_lshrrev_b32_e32 v189, 16, v180
	v_pack_b32_f16 v54, v54, v177
	v_lshrrev_b32_e32 v190, 16, v181
	s_wait_loadcnt 0x2
	v_lshrrev_b32_e32 v193, 16, v183
	s_wait_loadcnt 0x1
	;; [unrolled: 2-line block ×3, first 2 shown]
	v_lshrrev_b32_e32 v195, 16, v185
	ds_store_2addr_b32 v63, v53, v54 offset1:162
	ds_load_2addr_b32 v[53:54], v55 offset0:68 offset1:230
	ds_load_2addr_b32 v[58:59], v56 offset0:8 offset1:170
	;; [unrolled: 1-line block ×4, first 2 shown]
	ds_load_b32 v191, v63 offset:6480
	s_wait_dscnt 0x4
	v_lshrrev_b32_e32 v196, 16, v53
	v_lshrrev_b32_e32 v198, 16, v54
	s_wait_dscnt 0x3
	v_lshrrev_b32_e32 v200, 16, v58
	v_lshrrev_b32_e32 v202, 16, v59
	;; [unrolled: 3-line block ×4, first 2 shown]
	s_wait_dscnt 0x0
	v_lshrrev_b32_e32 v212, 16, v191
	v_mul_f16_e64 v197, v53, v192
	v_mul_f16_e64 v199, v54, v186
	;; [unrolled: 1-line block ×18, first 2 shown]
	v_fmac_f16_e64 v197, v196, v182
	v_fmac_f16_e64 v199, v198, v60
	v_fma_f16 v53, v53, v182, -v192
	v_fma_f16 v54, v54, v60, -v186
	v_fmac_f16_e64 v201, v200, v62
	v_fmac_f16_e64 v203, v202, v179
	v_fma_f16 v58, v58, v62, -v187
	v_fma_f16 v59, v59, v179, -v188
	;; [unrolled: 4-line block ×4, first 2 shown]
	v_fmac_f16_e64 v213, v212, v185
	v_fma_f16 v177, v191, v185, -v195
	v_pack_b32_f16 v53, v53, v197
	v_pack_b32_f16 v54, v54, v199
	;; [unrolled: 1-line block ×9, first 2 shown]
	ds_store_2addr_b32 v55, v53, v54 offset0:68 offset1:230
	ds_store_2addr_b32 v56, v58, v59 offset0:8 offset1:170
	;; [unrolled: 1-line block ×4, first 2 shown]
	ds_store_b32 v63, v177 offset:6480
	s_and_saveexec_b32 s2, vcc_lo
	s_cbranch_execz .LBB0_9
; %bb.8:
	s_wait_alu 0xfffe
	v_add_co_u32 v53, s0, s0, v63
	s_wait_alu 0xf1ff
	v_add_co_ci_u32_e64 v54, null, s1, 0, s0
	v_add_nc_u32_e32 v175, 0x100, v63
	v_add_nc_u32_e32 v189, 0x1500, v63
	s_clause 0xa
	global_load_b32 v58, v[53:54], off offset:396
	global_load_b32 v59, v[53:54], off offset:1044
	;; [unrolled: 1-line block ×11, first 2 shown]
	ds_load_2addr_b32 v[53:54], v175 offset0:35 offset1:197
	s_wait_dscnt 0x0
	v_lshrrev_b32_e32 v176, 16, v53
	v_lshrrev_b32_e32 v178, 16, v54
	s_wait_loadcnt 0xa
	v_lshrrev_b32_e32 v177, 16, v58
	s_wait_loadcnt 0x9
	;; [unrolled: 2-line block ×5, first 2 shown]
	v_lshrrev_b32_e32 v192, 16, v179
	v_mul_f16_e64 v187, v176, v177
	v_mul_f16_e64 v177, v53, v177
	;; [unrolled: 1-line block ×4, first 2 shown]
	s_wait_loadcnt 0x5
	v_lshrrev_b32_e32 v193, 16, v180
	v_fma_f16 v53, v53, v58, -v187
	v_fmac_f16_e64 v177, v176, v58
	v_fma_f16 v54, v54, v59, -v188
	v_fmac_f16_e64 v186, v178, v59
	v_add_nc_u32_e32 v187, 0xb00, v63
	v_add_nc_u32_e32 v188, 0x1000, v63
	v_pack_b32_f16 v53, v53, v177
	s_wait_loadcnt 0x4
	v_lshrrev_b32_e32 v194, 16, v181
	v_pack_b32_f16 v54, v54, v186
	v_add_nc_u32_e32 v186, 0x600, v63
	s_wait_loadcnt 0x3
	v_lshrrev_b32_e32 v195, 16, v182
	s_wait_loadcnt 0x2
	v_lshrrev_b32_e32 v197, 16, v183
	;; [unrolled: 2-line block ×3, first 2 shown]
	ds_store_2addr_b32 v175, v53, v54 offset0:35 offset1:197
	ds_load_2addr_b32 v[53:54], v186 offset0:39 offset1:201
	ds_load_2addr_b32 v[58:59], v187 offset0:43 offset1:205
	;; [unrolled: 1-line block ×4, first 2 shown]
	ds_load_b32 v196, v63 offset:6876
	s_wait_loadcnt 0x0
	v_lshrrev_b32_e32 v199, 16, v185
	s_wait_dscnt 0x4
	v_lshrrev_b32_e32 v200, 16, v53
	v_lshrrev_b32_e32 v202, 16, v54
	s_wait_dscnt 0x3
	v_lshrrev_b32_e32 v204, 16, v58
	;; [unrolled: 3-line block ×5, first 2 shown]
	v_mul_f16_e64 v201, v53, v190
	v_mul_f16_e64 v203, v54, v191
	;; [unrolled: 1-line block ×18, first 2 shown]
	v_fmac_f16_e64 v201, v200, v60
	v_fmac_f16_e64 v203, v202, v62
	v_fma_f16 v53, v53, v60, -v190
	v_fma_f16 v54, v54, v62, -v191
	v_fmac_f16_e64 v205, v204, v179
	v_fmac_f16_e64 v207, v206, v180
	v_fma_f16 v58, v58, v179, -v192
	v_fma_f16 v59, v59, v180, -v193
	;; [unrolled: 4-line block ×4, first 2 shown]
	v_fmac_f16_e64 v217, v216, v185
	v_fma_f16 v177, v196, v185, -v199
	v_pack_b32_f16 v53, v53, v201
	v_pack_b32_f16 v54, v54, v203
	;; [unrolled: 1-line block ×9, first 2 shown]
	ds_store_2addr_b32 v186, v53, v54 offset0:39 offset1:201
	ds_store_2addr_b32 v187, v58, v59 offset0:43 offset1:205
	;; [unrolled: 1-line block ×4, first 2 shown]
	ds_store_b32 v63, v177 offset:6876
.LBB0_9:
	s_wait_alu 0xfffe
	s_or_b32 exec_lo, exec_lo, s2
	global_wb scope:SCOPE_SE
	s_wait_dscnt 0x0
	s_barrier_signal -1
	s_barrier_wait -1
	global_inv scope:SCOPE_SE
	ds_load_2addr_b32 v[53:54], v63 offset1:162
	ds_load_2addr_b32 v[59:60], v55 offset0:68 offset1:230
	ds_load_2addr_b32 v[55:56], v56 offset0:8 offset1:170
	;; [unrolled: 1-line block ×4, first 2 shown]
	ds_load_b32 v175, v63 offset:6480
	s_and_saveexec_b32 s0, vcc_lo
	s_cbranch_execz .LBB0_11
; %bb.10:
	v_add_nc_u32_e32 v3, 0x100, v63
	v_add_nc_u32_e32 v4, 0x600, v63
	;; [unrolled: 1-line block ×3, first 2 shown]
	ds_load_2addr_b32 v[47:48], v3 offset0:35 offset1:197
	v_add_nc_u32_e32 v3, 0x1000, v63
	ds_load_2addr_b32 v[51:52], v4 offset0:39 offset1:201
	v_add_nc_u32_e32 v4, 0x1500, v63
	ds_load_2addr_b32 v[49:50], v5 offset0:43 offset1:205
	ds_load_2addr_b32 v[5:6], v3 offset0:47 offset1:209
	;; [unrolled: 1-line block ×3, first 2 shown]
	ds_load_b32 v87, v63 offset:6876
	s_wait_dscnt 0x5
	v_lshrrev_b32_e32 v168, 16, v47
	v_lshrrev_b32_e32 v174, 16, v48
	s_wait_dscnt 0x4
	v_lshrrev_b32_e32 v171, 16, v51
	v_lshrrev_b32_e32 v172, 16, v52
	s_wait_dscnt 0x3
	v_lshrrev_b32_e32 v170, 16, v49
	v_lshrrev_b32_e32 v173, 16, v50
	s_wait_dscnt 0x2
	v_lshrrev_b32_e32 v169, 16, v5
	v_lshrrev_b32_e32 v90, 16, v6
	s_wait_dscnt 0x1
	v_lshrrev_b32_e32 v89, 16, v3
	v_lshrrev_b32_e32 v88, 16, v4
	s_wait_dscnt 0x0
	v_lshrrev_b32_e32 v92, 16, v87
.LBB0_11:
	s_wait_alu 0xfffe
	s_or_b32 exec_lo, exec_lo, s0
	s_wait_dscnt 0x5
	v_pk_add_f16 v176, v53, v54
	s_wait_dscnt 0x0
	v_pk_add_f16 v177, v54, v175 neg_lo:[0,1] neg_hi:[0,1]
	v_pk_add_f16 v54, v175, v54
	v_pk_add_f16 v180, v59, v62 neg_lo:[0,1] neg_hi:[0,1]
	v_lshrrev_b32_e32 v178, 16, v53
	v_pk_add_f16 v176, v176, v59
	v_pk_mul_f16 v179, 0xb853, v177 op_sel_hi:[0,1]
	v_lshrrev_b32_e32 v181, 16, v177
	v_lshrrev_b32_e32 v182, 16, v54
	v_pk_add_f16 v59, v62, v59
	v_pk_add_f16 v176, v176, v60
	v_pk_fma_f16 v183, 0x3abb, v54, v179 op_sel:[0,0,1] op_sel_hi:[0,1,0]
	v_pk_fma_f16 v179, 0x3abb, v54, v179 op_sel:[0,0,1] op_sel_hi:[0,1,0] neg_lo:[0,0,1] neg_hi:[0,0,1]
	v_mul_f16_e64 v184, 0xbb47, v181
	v_lshrrev_b32_e32 v194, 16, v180
	v_pk_add_f16 v176, v176, v55
	v_mul_f16_e64 v185, 0x36a6, v182
	v_mul_f16_e64 v187, 0xb08e, v182
	;; [unrolled: 1-line block ×3, first 2 shown]
	v_bfi_b32 v188, 0xffff, v183, v179
	v_pk_add_f16 v176, v176, v56
	v_fma_f16 v189, 0x36a6, v54, v184
	v_mul_f16_e64 v196, 0xba0c, v194
	v_lshrrev_b32_e32 v197, 16, v59
	v_mul_f16_e64 v186, 0xbbeb, v181
	v_pk_add_f16 v176, v176, v57
	v_fma_f16 v190, 0x3b47, v177, v185
	v_fma_f16 v184, v54, 0x36a6, -v184
	v_fmac_f16_e64 v185, 0xbb47, v177
	v_fma_f16 v192, 0x3beb, v177, v187
	v_pk_add_f16 v176, v176, v58
	v_fmac_f16_e64 v187, 0xbbeb, v177
	v_pk_add_f16 v188, v53, v188
	v_add_f16_e64 v189, v53, v189
	v_fma_f16 v193, 0x3a0c, v177, v182
	v_pk_add_f16 v176, v176, v61
	v_fmac_f16_e64 v182, 0xba0c, v177
	v_fma_f16 v199, 0xb93d, v59, v196
	v_mul_f16_e64 v200, 0xb93d, v197
	v_fma_f16 v191, 0xb08e, v54, v186
	v_pk_add_f16 v176, v176, v62
	v_pk_mul_f16 v62, 0xbb47, v180 op_sel_hi:[0,1]
	v_fma_f16 v186, v54, 0xb08e, -v186
	v_add_f16_e64 v190, v178, v190
	v_add_f16_e64 v184, v53, v184
	v_add_f16_e64 v185, v178, v185
	v_pk_fma_f16 v195, 0x36a6, v59, v62 op_sel:[0,0,1] op_sel_hi:[0,1,0]
	v_pk_fma_f16 v62, 0x36a6, v59, v62 op_sel:[0,0,1] op_sel_hi:[0,1,0] neg_lo:[0,0,1] neg_hi:[0,0,1]
	v_add_f16_e64 v192, v178, v192
	v_add_f16_e64 v187, v178, v187
	;; [unrolled: 1-line block ×4, first 2 shown]
	v_bfi_b32 v198, 0xffff, v195, v62
	v_fma_f16 v196, v59, 0xb93d, -v196
	v_mul_f16_e64 v181, 0xba0c, v181
	v_add_f16_e64 v191, v53, v191
	v_add_f16_e64 v186, v53, v186
	v_pk_add_f16 v182, v198, v188
	v_add_f16_e64 v188, v199, v189
	v_fma_f16 v189, 0x3a0c, v180, v200
	v_mul_f16_e64 v198, 0x3482, v194
	v_mul_f16_e64 v199, 0xbbad, v197
	v_add_f16_e64 v184, v196, v184
	v_pk_add_f16 v175, v176, v175
	v_add_f16_e64 v189, v189, v190
	v_fma_f16 v190, 0xbbad, v59, v198
	v_fma_f16 v201, 0xb482, v180, v199
	v_fma_f16 v196, v59, 0xbbad, -v198
	v_fma_f16 v176, 0xb93d, v54, v181
	v_fmac_f16_e64 v200, 0xba0c, v180
	v_add_f16_e64 v190, v190, v191
	v_add_f16_e64 v191, v201, v192
	v_mul_f16_e64 v192, 0x3beb, v194
	v_add_f16_e64 v186, v196, v186
	v_pk_add_f16 v196, v60, v61 neg_lo:[0,1] neg_hi:[0,1]
	v_pk_add_f16 v60, v61, v60
	v_add_f16_e64 v176, v53, v176
	v_fma_f16 v181, v54, 0xb93d, -v181
	v_add_f16_e64 v185, v200, v185
	v_mul_f16_e64 v194, 0xb08e, v197
	v_fmac_f16_e64 v199, 0x3482, v180
	v_fma_f16 v197, 0xb08e, v59, v192
	v_pk_mul_f16 v61, 0xbbeb, v196 op_sel_hi:[0,1]
	v_lshrrev_b32_e32 v200, 16, v60
	v_add_f16_e64 v181, v53, v181
	v_fma_f16 v198, 0xbbeb, v180, v194
	v_add_f16_e64 v187, v199, v187
	v_lshrrev_b32_e32 v199, 16, v196
	v_add_f16_e64 v176, v197, v176
	v_pk_fma_f16 v197, 0xb08e, v60, v61 op_sel:[0,0,1] op_sel_hi:[0,1,0]
	v_pk_fma_f16 v61, 0xb08e, v60, v61 op_sel:[0,0,1] op_sel_hi:[0,1,0] neg_lo:[0,0,1] neg_hi:[0,0,1]
	v_fma_f16 v192, v59, 0xb08e, -v192
	v_fmac_f16_e64 v194, 0x3beb, v180
	v_mul_f16_e64 v203, 0xbbad, v200
	v_add_f16_e64 v193, v198, v193
	v_mul_f16_e64 v198, 0x3482, v199
	v_bfi_b32 v201, 0xffff, v197, v61
	v_add_f16_e64 v181, v192, v181
	v_add_f16_e64 v178, v194, v178
	v_fma_f16 v192, 0xb482, v196, v203
	v_mul_f16_e64 v194, 0x3b47, v199
	v_fma_f16 v202, 0xbbad, v60, v198
	v_pk_add_f16 v182, v201, v182
	v_mul_f16_e64 v201, 0x36a6, v200
	v_add_f16_e64 v189, v192, v189
	v_fma_f16 v192, 0x36a6, v60, v194
	v_fma_f16 v194, v60, 0x36a6, -v194
	v_add_f16_e64 v188, v202, v188
	v_fma_f16 v198, v60, 0xbbad, -v198
	v_fma_f16 v202, 0xbb47, v196, v201
	v_add_f16_e64 v190, v192, v190
	v_mul_f16_e64 v192, 0xb853, v199
	v_add_f16_e64 v186, v194, v186
	v_pk_add_f16 v194, v55, v58 neg_lo:[0,1] neg_hi:[0,1]
	v_pk_add_f16 v55, v58, v55
	v_add_f16_e64 v184, v198, v184
	v_add_f16_e64 v191, v202, v191
	v_mul_f16_e64 v198, 0x3abb, v200
	v_fmac_f16_e64 v201, 0x3b47, v196
	v_fma_f16 v199, 0x3abb, v60, v192
	v_pk_mul_f16 v58, 0xba0c, v194 op_sel_hi:[0,1]
	v_lshrrev_b32_e32 v202, 16, v55
	v_fmac_f16_e64 v203, 0x3482, v196
	v_fma_f16 v200, 0x3853, v196, v198
	v_add_f16_e64 v187, v201, v187
	v_lshrrev_b32_e32 v201, 16, v194
	v_add_f16_e64 v176, v199, v176
	v_pk_fma_f16 v199, 0xb93d, v55, v58 op_sel:[0,0,1] op_sel_hi:[0,1,0]
	v_pk_fma_f16 v58, 0xb93d, v55, v58 op_sel:[0,0,1] op_sel_hi:[0,1,0] neg_lo:[0,0,1] neg_hi:[0,0,1]
	v_fma_f16 v192, v60, 0x3abb, -v192
	v_fmac_f16_e64 v198, 0xb853, v196
	v_mul_f16_e64 v205, 0xb08e, v202
	v_add_f16_e64 v185, v203, v185
	v_add_f16_e64 v193, v200, v193
	v_mul_f16_e64 v200, 0x3beb, v201
	v_bfi_b32 v203, 0xffff, v199, v58
	v_add_f16_e64 v181, v192, v181
	v_add_f16_e64 v178, v198, v178
	v_fma_f16 v192, 0xbbeb, v194, v205
	v_mul_f16_e64 v198, 0xb853, v201
	v_fma_f16 v204, 0xb08e, v55, v200
	v_pk_add_f16 v182, v203, v182
	v_mul_f16_e64 v203, 0x3abb, v202
	v_fma_f16 v200, v55, 0xb08e, -v200
	v_add_f16_e64 v189, v192, v189
	v_fma_f16 v192, 0x3abb, v55, v198
	v_fma_f16 v198, v55, 0x3abb, -v198
	v_add_f16_e64 v188, v204, v188
	v_fma_f16 v204, 0x3853, v194, v203
	v_add_f16_e64 v184, v200, v184
	v_add_f16_e64 v190, v192, v190
	v_mul_f16_e64 v192, 0xb482, v201
	v_mul_f16_e64 v200, 0xbbad, v202
	v_add_f16_e64 v186, v198, v186
	v_pk_add_f16 v198, v56, v57 neg_lo:[0,1] neg_hi:[0,1]
	v_fmac_f16_e64 v203, 0xb853, v194
	v_fma_f16 v201, 0xbbad, v55, v192
	v_fma_f16 v202, 0x3482, v194, v200
	v_pk_add_f16 v56, v57, v56
	v_pk_mul_f16 v57, 0xb482, v198 op_sel_hi:[0,1]
	v_add_f16_e64 v187, v203, v187
	v_lshrrev_b32_e32 v203, 16, v198
	v_fmac_f16_e64 v205, 0x3beb, v194
	v_add_f16_e64 v191, v204, v191
	v_add_f16_e64 v176, v201, v176
	;; [unrolled: 1-line block ×3, first 2 shown]
	v_pk_fma_f16 v201, 0xbbad, v56, v57 op_sel:[0,0,1] op_sel_hi:[0,1,0]
	v_pk_fma_f16 v57, 0xbbad, v56, v57 op_sel:[0,0,1] op_sel_hi:[0,1,0] neg_lo:[0,0,1] neg_hi:[0,0,1]
	v_mul_f16_e64 v202, 0x3853, v203
	v_fma_f16 v192, v55, 0xbbad, -v192
	v_lshrrev_b32_e32 v204, 16, v56
	v_add_f16_e64 v185, v205, v185
	v_fmac_f16_e64 v200, 0xb482, v194
	v_bfi_b32 v205, 0xffff, v201, v57
	v_fma_f16 v206, 0x3abb, v56, v202
	v_add_f16_e64 v181, v192, v181
	v_mul_f16_e64 v192, 0x3abb, v204
	v_add_f16_e64 v178, v200, v178
	v_pk_add_f16 v182, v205, v182
	v_add_f16_e64 v188, v206, v188
	v_mul_f16_e64 v200, 0xba0c, v203
	v_fma_f16 v205, 0xb853, v198, v192
	v_fma_f16 v202, v56, 0x3abb, -v202
	v_fmac_f16_e64 v192, 0x3853, v198
	v_mul_f16_e64 v206, 0xb93d, v204
	v_fma_f16 v207, 0xb93d, v56, v200
	v_fma_f16 v200, v56, 0xb93d, -v200
	v_add_f16_e64 v184, v202, v184
	v_add_f16_e64 v185, v192, v185
	v_fma_f16 v192, 0x3a0c, v198, v206
	v_mul_f16_e64 v202, 0x3b47, v203
	v_add_f16_e64 v186, v200, v186
	v_pk_mul_f16 v54, 0xbbad, v54 op_sel_hi:[0,1]
	v_pk_mul_f16 v59, 0x3abb, v59 op_sel_hi:[0,1]
	v_add_f16_e64 v191, v192, v191
	v_mul_f16_e64 v192, 0x36a6, v204
	v_fma_f16 v200, 0x36a6, v56, v202
	v_add_f16_e64 v189, v205, v189
	v_add_f16_e64 v190, v207, v190
	v_pk_mul_f16 v60, 0xb93d, v60 op_sel_hi:[0,1]
	v_fma_f16 v203, 0xbb47, v198, v192
	v_fmac_f16_e64 v192, 0x3b47, v198
	v_add_f16_e64 v176, v200, v176
	v_pk_fma_f16 v200, 0xb482, v177, v54 op_sel:[0,0,1] op_sel_hi:[0,1,0]
	v_pk_fma_f16 v54, 0xb482, v177, v54 op_sel:[0,0,1] op_sel_hi:[0,1,0] neg_lo:[0,1,0] neg_hi:[0,1,0]
	v_pk_fma_f16 v177, 0x3853, v180, v59 op_sel:[0,0,1] op_sel_hi:[0,1,0]
	v_add_f16_e64 v178, v192, v178
	v_pack_b32_f16 v190, v190, v191
	v_alignbit_b32 v192, s0, v200, 16
	v_pack_b32_f16 v188, v188, v189
	v_alignbit_b32 v191, s0, v53, 16
	v_pk_add_f16 v54, v53, v54 op_sel:[1,0] op_sel_hi:[0,1]
	v_pk_fma_f16 v59, 0x3853, v180, v59 op_sel:[0,0,1] op_sel_hi:[0,1,0] neg_lo:[0,1,0] neg_hi:[0,1,0]
	v_pk_add_f16 v189, v53, v192
	v_alignbit_b32 v192, s0, v177, 16
	v_pk_fma_f16 v180, 0xba0c, v196, v60 op_sel:[0,0,1] op_sel_hi:[0,1,0]
	v_pk_mul_f16 v55, 0x36a6, v55 op_sel_hi:[0,1]
	v_pk_add_f16 v191, v191, v200
	v_pk_add_f16 v54, v59, v54
	v_pk_add_f16 v189, v192, v189
	v_alignbit_b32 v59, s0, v180, 16
	v_pk_fma_f16 v60, 0xba0c, v196, v60 op_sel:[0,0,1] op_sel_hi:[0,1,0] neg_lo:[0,1,0] neg_hi:[0,1,0]
	v_pk_fma_f16 v192, 0x3b47, v194, v55 op_sel:[0,0,1] op_sel_hi:[0,1,0]
	v_bfi_b32 v179, 0xffff, v179, v183
	v_fma_f16 v202, v56, 0x36a6, -v202
	v_pk_add_f16 v177, v177, v191
	v_pk_add_f16 v59, v59, v189
	v_pk_add_f16 v54, v60, v54
	v_alignbit_b32 v60, s0, v192, 16
	v_pk_mul_f16 v56, 0xb08e, v56 op_sel_hi:[0,1]
	v_pk_add_f16 v53, v53, v179
	v_bfi_b32 v62, 0xffff, v62, v195
	v_pk_add_f16 v177, v180, v177
	v_pk_fma_f16 v55, 0x3b47, v194, v55 op_sel:[0,0,1] op_sel_hi:[0,1,0] neg_lo:[0,1,0] neg_hi:[0,1,0]
	v_pk_add_f16 v59, v60, v59
	v_pk_fma_f16 v60, 0xbbeb, v198, v56 op_sel:[0,0,1] op_sel_hi:[0,1,0]
	v_pk_add_f16 v53, v62, v53
	v_bfi_b32 v61, 0xffff, v61, v197
	v_pk_add_f16 v54, v55, v54
	v_pk_fma_f16 v55, 0xbbeb, v198, v56 op_sel:[0,0,1] op_sel_hi:[0,1,0] neg_lo:[0,1,0] neg_hi:[0,1,0]
	v_pk_add_f16 v56, v192, v177
	v_alignbit_b32 v62, s0, v60, 16
	v_fmac_f16_e64 v206, 0xba0c, v198
	v_pk_add_f16 v53, v61, v53
	v_bfi_b32 v58, 0xffff, v58, v199
	v_add_f16_e64 v193, v203, v193
	v_pk_add_f16 v54, v55, v54
	v_pk_add_f16 v55, v60, v56
	;; [unrolled: 1-line block ×3, first 2 shown]
	v_add_f16_e64 v187, v206, v187
	v_add_f16_e64 v181, v202, v181
	v_pk_add_f16 v53, v58, v53
	v_bfi_b32 v57, 0xffff, v57, v201
	v_pack_b32_f16 v59, v176, v193
	v_alignbit_b32 v55, v55, v54, 16
	v_pack_b32_f16 v54, v56, v54
	v_pack_b32_f16 v56, v186, v187
	;; [unrolled: 1-line block ×3, first 2 shown]
	global_wb scope:SCOPE_SE
	s_barrier_signal -1
	s_barrier_wait -1
	global_inv scope:SCOPE_SE
	v_pk_add_f16 v53, v57, v53
	v_pack_b32_f16 v57, v184, v185
	ds_store_2addr_b32 v97, v175, v182 offset1:1
	ds_store_2addr_b32 v97, v188, v190 offset0:2 offset1:3
	ds_store_b32 v97, v59 offset:16
	ds_store_2addr_b32 v97, v54, v55 offset0:5 offset1:6
	ds_store_2addr_b32 v97, v58, v56 offset0:7 offset1:8
	;; [unrolled: 1-line block ×3, first 2 shown]
	s_and_saveexec_b32 s0, vcc_lo
	s_cbranch_execz .LBB0_13
; %bb.12:
	v_sub_f16_e32 v53, v48, v87
	v_add_f16_e64 v54, v92, v174
	v_sub_f16_e32 v55, v51, v4
	v_add_f16_e64 v56, v88, v171
	v_sub_f16_e32 v57, v52, v3
	v_mul_f16_e32 v58, 0xb482, v53
	v_add_f16_e64 v59, v89, v172
	v_mul_f16_e32 v62, 0x3853, v55
	v_sub_f16_e32 v60, v49, v6
	v_mul_f16_e64 v177, 0xba0c, v57
	v_fmamk_f16 v97, v54, 0xbbad, v58
	v_sub_f16_e64 v179, v174, v92
	v_fma_f16 v178, 0x3abb, v56, v62
	v_add_f16_e64 v61, v90, v170
	v_add_f16_e64 v180, v87, v48
	;; [unrolled: 1-line block ×3, first 2 shown]
	v_mul_f16_e64 v181, 0x3b47, v60
	v_fma_f16 v182, 0xb93d, v59, v177
	v_sub_f16_e64 v183, v171, v88
	v_add_f16_e64 v184, v4, v51
	v_add_f16_e64 v97, v178, v97
	v_mul_f16_e64 v178, 0xb482, v179
	v_fma_f16 v185, 0x36a6, v61, v181
	v_mul_f16_e64 v186, 0x3853, v183
	v_sub_f16_e64 v187, v172, v89
	v_add_f16_e64 v97, v182, v97
	v_fma_f16 v182, v180, 0xbbad, -v178
	v_add_f16_e64 v189, v3, v52
	v_sub_f16_e64 v192, v170, v90
	v_mul_f16_e64 v190, 0xba0c, v187
	v_add_f16_e64 v97, v185, v97
	v_add_f16_e64 v182, v47, v182
	v_fma_f16 v185, v184, 0x3abb, -v186
	v_fma_f16 v58, v54, 0xbbad, -v58
	v_add_f16_e64 v193, v6, v49
	v_mul_f16_e64 v194, 0x3b47, v192
	v_sub_f16_e64 v195, v173, v169
	v_add_f16_e64 v182, v185, v182
	v_fma_f16 v185, v189, 0xb93d, -v190
	v_add_f16_e64 v58, v168, v58
	v_fma_f16 v62, v56, 0x3abb, -v62
	v_add_f16_e64 v196, v5, v50
	v_mul_f16_e64 v197, 0xbbeb, v195
	v_add_f16_e64 v182, v185, v182
	v_fma_f16 v185, v193, 0x36a6, -v194
	v_add_f16_e32 v58, v62, v58
	v_fma_f16 v62, v59, 0xb93d, -v177
	v_sub_f16_e64 v175, v50, v5
	v_fmac_f16_e64 v178, 0xbbad, v180
	v_add_f16_e64 v177, v185, v182
	v_fma_f16 v182, v196, 0xb08e, -v197
	v_add_f16_e32 v58, v62, v58
	v_fma_f16 v62, v61, 0x36a6, -v181
	v_mul_f16_e64 v181, 0xb93d, v54
	v_add_f16_e64 v176, v169, v173
	v_mul_f16_e64 v188, 0xbbeb, v175
	v_add_f16_e64 v178, v47, v178
	v_fmac_f16_e64 v186, 0x3abb, v184
	v_add_f16_e64 v177, v182, v177
	v_add_f16_e32 v58, v62, v58
	v_fma_f16 v62, 0x3a0c, v53, v181
	v_mul_f16_e64 v182, 0xb08e, v56
	v_fma_f16 v191, 0xb08e, v176, v188
	v_add_f16_e64 v178, v186, v178
	v_fma_f16 v185, v176, 0xb08e, -v188
	v_add_f16_e64 v62, v168, v62
	v_fma_f16 v186, 0xbbeb, v55, v182
	v_mul_f16_e64 v188, 0x3abb, v59
	v_add_f16_e64 v97, v191, v97
	v_add_f16_e64 v58, v185, v58
	v_mul_f16_e64 v191, 0x36a6, v176
	v_add_f16_e64 v62, v186, v62
	v_fma_f16 v185, 0x3853, v57, v188
	v_mul_f16_e64 v186, 0xbbad, v61
	v_mul_f16_e64 v198, 0xb08e, v54
	;; [unrolled: 1-line block ×4, first 2 shown]
	v_add_f16_e64 v62, v185, v62
	v_fma_f16 v185, 0x3482, v60, v186
	v_mul_f16_e64 v206, 0x3abb, v61
	v_fma_f16 v203, 0xb482, v55, v201
	v_mul_f16_e64 v208, 0xb93d, v176
	v_mul_f16_e64 v210, 0x36a6, v54
	v_add_f16_e64 v62, v185, v62
	v_fma_f16 v185, 0xbb47, v175, v191
	v_mul_f16_e64 v213, 0xb93d, v56
	v_mul_f16_e64 v216, 0xbbad, v59
	;; [unrolled: 1-line block ×4, first 2 shown]
	v_add_f16_e64 v62, v185, v62
	v_fma_f16 v185, 0x3beb, v53, v198
	v_fma_f16 v215, 0x3a0c, v55, v213
	v_mul_f16_e32 v54, 0x3abb, v54
	v_mul_f16_e32 v56, 0x36a6, v56
	v_fmac_f16_e64 v190, 0xb93d, v189
	v_add_f16_e64 v185, v168, v185
	v_mul_f16_e32 v59, 0xb08e, v59
	v_add_f16_e32 v48, v48, v47
	v_fma_f16 v225, 0x3b47, v55, v56
	v_add_f16_e64 v178, v190, v178
	v_add_f16_e64 v185, v203, v185
	v_fma_f16 v203, 0xbb47, v57, v204
	v_fmac_f16_e64 v194, 0x36a6, v193
	v_mul_f16_e32 v61, 0xb93d, v61
	v_add_f16_e32 v48, v51, v48
	v_add_f16_e64 v51, v174, v168
	v_add_f16_e64 v185, v203, v185
	v_fma_f16 v203, 0x3853, v60, v206
	v_add_f16_e64 v178, v194, v178
	v_fmac_f16_e64 v197, 0xb08e, v196
	v_mul_f16_e64 v190, 0xba0c, v179
	v_mul_f16_e64 v207, 0xbbeb, v179
	v_add_f16_e64 v185, v203, v185
	v_fma_f16 v203, 0x3a0c, v175, v208
	v_mul_f16_e64 v219, 0xbb47, v179
	v_fma_f16 v174, 0x3a0c, v60, v61
	v_mul_f16_e64 v179, 0xb853, v179
	v_add_f16_e32 v48, v52, v48
	v_add_f16_e64 v185, v203, v185
	v_fma_f16 v203, 0x3b47, v53, v210
	v_add_f16_e64 v51, v171, v51
	v_add_f16_e64 v178, v197, v178
	v_fma_f16 v194, 0xb93d, v180, v190
	v_mul_f16_e64 v197, 0x3beb, v183
	v_add_f16_e64 v203, v168, v203
	v_fma_f16 v171, 0x3abb, v180, v179
	v_add_f16_e32 v48, v49, v48
	v_add_f16_e64 v49, v172, v51
	v_add_f16_e64 v194, v47, v194
	v_add_f16_e64 v203, v215, v203
	v_fma_f16 v215, 0xb482, v57, v216
	v_fma_f16 v199, 0xb08e, v184, v197
	v_mul_f16_e64 v200, 0xb853, v187
	v_add_f16_e64 v171, v47, v171
	v_add_f16_e32 v48, v50, v48
	v_add_f16_e64 v203, v215, v203
	v_fma_f16 v215, 0xbbeb, v60, v218
	v_add_f16_e64 v49, v170, v49
	v_mul_f16_e64 v50, 0xbbeb, v187
	v_add_f16_e64 v194, v199, v194
	v_fma_f16 v199, 0x3abb, v189, v200
	v_add_f16_e64 v203, v215, v203
	v_fma_f16 v215, 0xb853, v175, v220
	v_mul_f16_e64 v202, 0xb482, v192
	v_add_f16_e32 v5, v5, v48
	v_add_f16_e64 v48, v173, v49
	v_fma_f16 v49, 0xb08e, v189, v50
	v_add_f16_e64 v203, v215, v203
	v_fma_f16 v215, 0x3853, v53, v54
	;; [unrolled: 2-line block ×3, first 2 shown]
	v_mul_f16_e64 v205, 0x3b47, v195
	v_add_f16_e32 v5, v6, v5
	v_add_f16_e64 v215, v168, v215
	v_add_f16_e64 v6, v169, v48
	v_mul_f16_e64 v169, 0xb482, v195
	v_add_f16_e64 v194, v199, v194
	v_fma_f16 v199, 0x36a6, v196, v205
	v_add_f16_e64 v215, v225, v215
	v_fma_f16 v225, 0x3beb, v57, v59
	v_add_f16_e32 v3, v3, v5
	v_add_f16_e32 v5, v90, v6
	v_add_f16_e64 v194, v199, v194
	v_fma_f16 v199, 0xb08e, v180, v207
	v_add_f16_e64 v215, v225, v215
	v_mul_f16_e64 v209, 0x3482, v183
	v_mul_f16_e64 v212, 0x3b47, v187
	;; [unrolled: 1-line block ×3, first 2 shown]
	v_add_f16_e64 v199, v47, v199
	v_add_f16_e64 v52, v174, v215
	v_mul_f16_e64 v174, 0xbb47, v183
	v_fma_f16 v211, 0xbbad, v184, v209
	v_mul_f16_e64 v217, 0xba0c, v195
	v_add_f16_e32 v3, v4, v3
	v_fmac_f16_e64 v198, 0xbbeb, v53
	v_fma_f16 v172, 0x36a6, v184, v174
	v_add_f16_e64 v199, v211, v199
	v_fma_f16 v211, 0x36a6, v189, v212
	v_add_f16_e32 v4, v89, v5
	v_add_f16_e32 v3, v87, v3
	v_add_f16_e64 v171, v172, v171
	v_mul_f16_e64 v172, 0xba0c, v192
	v_add_f16_e64 v199, v211, v199
	v_fma_f16 v211, 0x3abb, v193, v214
	v_add_f16_e64 v87, v168, v198
	v_add_f16_e64 v48, v49, v171
	v_fma_f16 v49, 0xb93d, v193, v172
	v_fmac_f16_e64 v201, 0x3482, v55
	v_add_f16_e64 v199, v211, v199
	v_fma_f16 v211, 0xb93d, v196, v217
	v_fma_f16 v90, v196, 0x36a6, -v205
	v_add_f16_e32 v6, v49, v48
	v_fma_f16 v48, 0xbbad, v196, v169
	v_fma_f16 v49, v184, 0xb08e, -v197
	v_add_f16_e64 v199, v211, v199
	v_fma_f16 v211, 0x36a6, v180, v219
	v_mul_f16_e64 v221, 0xba0c, v183
	v_add_f16_e32 v6, v48, v6
	v_fma_f16 v48, v180, 0xb93d, -v190
	v_fmac_f16_e64 v181, 0xba0c, v53
	v_add_f16_e32 v4, v88, v4
	v_add_f16_e64 v87, v201, v87
	v_fmac_f16_e64 v204, 0x3b47, v57
	v_add_f16_e32 v48, v47, v48
	v_fma_f16 v88, v180, 0xb08e, -v207
	v_fmac_f16_e64 v210, 0xbb47, v53
	v_fmac_f16_e32 v54, 0xb853, v53
	v_fma_f16 v53, v180, 0x3abb, -v179
	v_add_f16_e32 v48, v49, v48
	v_fma_f16 v49, v189, 0x3abb, -v200
	v_add_f16_e64 v211, v47, v211
	v_fma_f16 v222, 0xb93d, v184, v221
	v_mul_f16_e64 v223, 0x3482, v187
	v_add_f16_e64 v5, v168, v181
	v_add_f16_e32 v48, v49, v48
	v_fma_f16 v49, v193, 0xbbad, -v202
	v_fmac_f16_e64 v182, 0x3beb, v55
	v_add_f16_e32 v4, v92, v4
	v_add_f16_e64 v89, v168, v210
	v_fmac_f16_e64 v213, 0xba0c, v55
	v_add_f16_e32 v48, v49, v48
	v_add_f16_e64 v49, v204, v87
	v_add_f16_e32 v87, v47, v88
	v_fma_f16 v88, v184, 0xbbad, -v209
	v_fma_f16 v92, v184, 0xb93d, -v221
	v_add_f16_e32 v48, v90, v48
	v_fma_f16 v90, v180, 0x36a6, -v219
	v_add_f16_e64 v54, v168, v54
	v_fmac_f16_e32 v56, 0xbb47, v55
	v_add_f16_e64 v211, v222, v211
	v_fma_f16 v222, 0xbbad, v189, v223
	v_add_f16_e32 v90, v47, v90
	v_add_f16_e32 v47, v47, v53
	v_fma_f16 v53, v184, 0x36a6, -v174
	v_mul_f16_e64 v224, 0x3beb, v192
	v_add_f16_e64 v5, v182, v5
	v_fmac_f16_e64 v188, 0xb853, v57
	v_add_f16_e32 v87, v88, v87
	v_fma_f16 v88, v189, 0x36a6, -v212
	v_add_f16_e64 v89, v213, v89
	v_fmac_f16_e64 v216, 0x3482, v57
	v_add_f16_e32 v55, v92, v90
	v_fma_f16 v90, v189, 0xbbad, -v223
	v_mul_f16_e64 v51, 0xbbad, v176
	v_add_f16_e32 v54, v56, v54
	v_fmac_f16_e32 v59, 0xbbeb, v57
	v_add_f16_e32 v47, v53, v47
	v_fma_f16 v50, v189, 0xb08e, -v50
	v_add_f16_e64 v211, v222, v211
	v_fma_f16 v222, 0xb08e, v193, v224
	v_mul_f16_e64 v226, 0x3853, v195
	v_add_f16_e64 v5, v188, v5
	v_fmac_f16_e64 v186, 0xb482, v60
	v_fmac_f16_e64 v206, 0xb853, v60
	v_add_f16_e32 v87, v88, v87
	v_fma_f16 v88, v193, 0x3abb, -v214
	v_add_f16_e64 v89, v216, v89
	v_fmac_f16_e64 v218, 0x3beb, v60
	v_add_f16_e32 v53, v90, v55
	v_fma_f16 v55, v193, 0xb08e, -v224
	v_fma_f16 v170, 0x3482, v175, v51
	v_add_f16_e32 v54, v59, v54
	v_fmac_f16_e32 v61, 0xba0c, v60
	v_add_f16_e32 v47, v50, v47
	v_fma_f16 v50, v193, 0xb93d, -v172
	v_add_f16_e64 v211, v222, v211
	v_fma_f16 v222, 0x3abb, v196, v226
	v_add_f16_e64 v5, v186, v5
	v_fmac_f16_e64 v191, 0x3b47, v175
	v_add_f16_e64 v49, v206, v49
	v_fmac_f16_e64 v208, 0xba0c, v175
	v_add_f16_e32 v87, v88, v87
	v_fma_f16 v88, v196, 0xb93d, -v217
	v_add_f16_e64 v89, v218, v89
	v_fmac_f16_e64 v220, 0x3853, v175
	v_add_f16_e32 v53, v55, v53
	v_fma_f16 v55, v196, 0x3abb, -v226
	v_add_f16_e64 v52, v170, v52
	v_add_f16_e32 v54, v61, v54
	v_fmac_f16_e64 v51, 0xb482, v175
	v_add_f16_e32 v47, v50, v47
	v_fma_f16 v50, v196, 0xbbad, -v169
	v_add_f16_e64 v211, v222, v211
	v_add_f16_e64 v5, v191, v5
	;; [unrolled: 1-line block ×3, first 2 shown]
	v_add_f16_e32 v56, v88, v87
	v_add_f16_e64 v57, v220, v89
	v_add_f16_e32 v53, v55, v53
	v_add_f16_e32 v51, v51, v54
	;; [unrolled: 1-line block ×3, first 2 shown]
	v_lshlrev_b32_e32 v50, 2, v91
	v_pack_b32_f16 v6, v6, v52
	v_pack_b32_f16 v3, v3, v4
	;; [unrolled: 1-line block ×11, first 2 shown]
	ds_store_2addr_b32 v50, v3, v6 offset1:1
	ds_store_2addr_b32 v50, v52, v4 offset0:2 offset1:3
	ds_store_2addr_b32 v50, v55, v54 offset0:4 offset1:5
	;; [unrolled: 1-line block ×4, first 2 shown]
	ds_store_b32 v50, v47 offset:40
.LBB0_13:
	s_wait_alu 0xfffe
	s_or_b32 exec_lo, exec_lo, s0
	v_add_nc_u32_e32 v6, 0x800, v63
	v_add_nc_u32_e32 v48, 0x1200, v63
	;; [unrolled: 1-line block ×5, first 2 shown]
	global_wb scope:SCOPE_SE
	s_wait_dscnt 0x0
	s_barrier_signal -1
	s_barrier_wait -1
	global_inv scope:SCOPE_SE
	ds_load_2addr_b32 v[51:52], v63 offset1:99
	ds_load_2addr_b32 v[53:54], v6 offset0:82 offset1:181
	ds_load_2addr_b32 v[55:56], v48 offset0:36 offset1:135
	;; [unrolled: 1-line block ×5, first 2 shown]
	v_add_nc_u32_e32 v5, 0x400, v63
	v_add_nc_u32_e32 v4, 0xe00, v63
	;; [unrolled: 1-line block ×3, first 2 shown]
	ds_load_2addr_b32 v[87:88], v5 offset0:140 offset1:239
	ds_load_2addr_b32 v[89:90], v4 offset0:94 offset1:193
	;; [unrolled: 1-line block ×3, first 2 shown]
	global_wb scope:SCOPE_SE
	s_wait_dscnt 0x0
	s_barrier_signal -1
	s_barrier_wait -1
	global_inv scope:SCOPE_SE
	s_mov_b32 s8, 0x7210aa18
	s_mov_b32 s9, 0x3f426369
	v_lshrrev_b32_e32 v169, 16, v53
	v_lshrrev_b32_e32 v170, 16, v55
	;; [unrolled: 1-line block ×5, first 2 shown]
	v_mul_f16_e64 v183, v117, v169
	v_mul_f16_e32 v117, v117, v53
	v_mul_f16_e64 v186, v116, v170
	v_lshrrev_b32_e32 v175, 16, v61
	v_lshrrev_b32_e32 v177, 16, v60
	v_fmac_f16_e64 v183, v17, v53
	v_mul_f16_e32 v53, v116, v55
	v_mul_f16_e64 v116, v115, v171
	v_fmac_f16_e64 v186, v18, v55
	v_mul_f16_e32 v55, v115, v54
	v_lshrrev_b32_e32 v178, 16, v62
	v_fma_f16 v18, v18, v170, -v53
	v_mul_f16_e64 v53, v114, v172
	v_fmac_f16_e32 v116, v15, v54
	v_mul_f16_e32 v54, v114, v56
	v_fma_f16 v15, v15, v171, -v55
	v_mul_f16_e64 v55, v113, v174
	v_fmac_f16_e32 v53, v16, v56
	v_mul_f16_e32 v56, v113, v59
	;; [unrolled: 4-line block ×3, first 2 shown]
	v_fma_f16 v13, v13, v174, -v56
	v_mul_f16_e64 v56, v111, v177
	v_lshrrev_b32_e32 v180, 16, v89
	v_lshrrev_b32_e32 v181, 16, v91
	v_fmac_f16_e32 v54, v14, v61
	v_mul_f16_e32 v61, v111, v60
	v_fma_f16 v14, v14, v175, -v59
	v_mul_f16_e64 v59, v110, v178
	v_fmac_f16_e32 v56, v11, v60
	v_mul_f16_e32 v60, v110, v62
	v_lshrrev_b32_e32 v184, 16, v90
	v_fma_f16 v11, v11, v177, -v61
	v_mul_f16_e64 v61, v109, v180
	v_fmac_f16_e32 v59, v12, v62
	v_mul_f16_e32 v62, v109, v89
	v_fma_f16 v12, v12, v178, -v60
	v_mul_f16_e64 v60, v108, v181
	v_lshrrev_b32_e32 v185, 16, v92
	v_fmac_f16_e32 v61, v9, v89
	v_mul_f16_e32 v89, v108, v91
	v_fma_f16 v9, v9, v180, -v62
	v_mul_f16_e64 v62, v107, v184
	v_fmac_f16_e32 v60, v10, v91
	v_mul_f16_e32 v91, v107, v90
	v_lshrrev_b32_e32 v97, 16, v51
	v_fma_f16 v17, v17, v169, -v117
	v_fma_f16 v10, v10, v181, -v89
	v_mul_f16_e64 v89, v106, v185
	v_fmac_f16_e32 v62, v7, v90
	v_mul_f16_e32 v90, v106, v92
	v_fma_f16 v7, v7, v184, -v91
	v_add_f16_e64 v91, v183, v186
	v_fmac_f16_e32 v89, v8, v92
	v_add_f16_e64 v92, v51, v183
	v_fma_f16 v8, v8, v185, -v90
	v_add_f16_e32 v90, v17, v18
	v_fma_f16 v51, -0.5, v91, v51
	v_sub_f16_e32 v91, v17, v18
	v_add_f16_e32 v17, v97, v17
	v_lshrrev_b32_e32 v168, 16, v52
	v_fmac_f16_e32 v97, -0.5, v90
	v_sub_f16_e64 v90, v183, v186
	v_fmamk_f16 v106, v91, 0xbaee, v51
	v_add_f16_e32 v17, v17, v18
	v_add_f16_e32 v18, v116, v53
	v_fmac_f16_e32 v51, 0x3aee, v91
	v_fmamk_f16 v91, v90, 0x3aee, v97
	v_add_f16_e32 v107, v52, v116
	v_fmac_f16_e32 v97, 0xbaee, v90
	v_add_f16_e32 v90, v15, v16
	v_fmac_f16_e32 v52, -0.5, v18
	v_sub_f16_e32 v18, v15, v16
	v_add_f16_e64 v15, v168, v15
	v_lshrrev_b32_e32 v173, 16, v57
	v_add_f16_e32 v107, v107, v53
	v_fmac_f16_e64 v168, -0.5, v90
	v_sub_f16_e32 v53, v116, v53
	v_add_f16_e32 v15, v15, v16
	v_add_f16_e32 v16, v55, v54
	v_fmamk_f16 v90, v18, 0xbaee, v52
	v_fmac_f16_e32 v52, 0x3aee, v18
	v_fma_f16 v18, 0x3aee, v53, v168
	v_add_f16_e32 v108, v57, v55
	v_fmac_f16_e64 v168, 0xbaee, v53
	v_add_f16_e32 v53, v13, v14
	v_fma_f16 v16, -0.5, v16, v57
	v_sub_f16_e32 v57, v13, v14
	v_add_f16_e64 v13, v173, v13
	v_lshrrev_b32_e32 v176, 16, v58
	v_fmac_f16_e64 v173, -0.5, v53
	v_sub_f16_e32 v53, v55, v54
	v_add_f16_e32 v108, v108, v54
	v_add_f16_e32 v13, v13, v14
	;; [unrolled: 1-line block ×3, first 2 shown]
	v_fmamk_f16 v54, v57, 0xbaee, v16
	v_fmac_f16_e32 v16, 0x3aee, v57
	v_fma_f16 v55, 0x3aee, v53, v173
	v_add_f16_e32 v57, v58, v56
	v_fmac_f16_e64 v173, 0xbaee, v53
	v_add_f16_e32 v53, v11, v12
	v_fmac_f16_e32 v58, -0.5, v14
	v_sub_f16_e32 v14, v11, v12
	v_add_f16_e64 v11, v176, v11
	v_lshrrev_b32_e32 v179, 16, v87
	v_fmac_f16_e64 v176, -0.5, v53
	v_sub_f16_e32 v53, v56, v59
	v_add_f16_e32 v57, v57, v59
	v_add_f16_e32 v11, v11, v12
	;; [unrolled: 1-line block ×3, first 2 shown]
	v_fmamk_f16 v56, v14, 0xbaee, v58
	v_fmac_f16_e32 v58, 0x3aee, v14
	v_fma_f16 v14, 0x3aee, v53, v176
	v_add_f16_e32 v59, v87, v61
	v_fmac_f16_e64 v176, 0xbaee, v53
	v_add_f16_e32 v53, v9, v10
	v_fma_f16 v12, -0.5, v12, v87
	v_sub_f16_e32 v87, v9, v10
	v_add_f16_e64 v9, v179, v9
	v_lshrrev_b32_e32 v182, 16, v88
	v_fmac_f16_e64 v179, -0.5, v53
	v_sub_f16_e32 v53, v61, v60
	v_add_f16_e64 v92, v92, v186
	v_add_f16_e32 v9, v9, v10
	v_add_f16_e32 v10, v62, v89
	;; [unrolled: 1-line block ×3, first 2 shown]
	v_fmamk_f16 v60, v87, 0xbaee, v12
	v_fmac_f16_e32 v12, 0x3aee, v87
	v_fma_f16 v61, 0x3aee, v53, v179
	v_fmac_f16_e64 v179, 0xbaee, v53
	v_add_f16_e32 v53, v7, v8
	v_add_f16_e32 v87, v88, v62
	v_fmac_f16_e32 v88, -0.5, v10
	v_sub_f16_e32 v10, v7, v8
	v_add_f16_e64 v7, v182, v7
	v_fmac_f16_e64 v182, -0.5, v53
	v_sub_f16_e32 v53, v62, v89
	v_add_f16_e32 v62, v87, v89
	v_fmamk_f16 v87, v10, 0xbaee, v88
	v_fmac_f16_e32 v88, 0x3aee, v10
	v_pack_b32_f16 v10, v92, v17
	v_pack_b32_f16 v17, v106, v91
	;; [unrolled: 1-line block ×3, first 2 shown]
	ds_store_2addr_b32 v99, v10, v17 offset1:11
	ds_store_b32 v99, v51 offset:88
	v_pack_b32_f16 v10, v107, v15
	v_pack_b32_f16 v15, v90, v18
	v_pack_b32_f16 v17, v52, v168
	v_pack_b32_f16 v13, v108, v13
	v_pack_b32_f16 v18, v54, v55
	v_add_f16_e32 v7, v7, v8
	v_fma_f16 v8, 0x3aee, v53, v182
	v_pack_b32_f16 v16, v16, v173
	v_fmac_f16_e64 v182, 0xbaee, v53
	v_pack_b32_f16 v11, v57, v11
	v_pack_b32_f16 v14, v56, v14
	ds_store_2addr_b32 v98, v10, v15 offset1:11
	ds_store_b32 v98, v17 offset:88
	ds_store_2addr_b32 v96, v13, v18 offset1:11
	ds_store_b32 v96, v16 offset:88
	ds_store_2addr_b32 v95, v11, v14 offset1:11
	v_pack_b32_f16 v10, v58, v176
	v_pack_b32_f16 v9, v59, v9
	;; [unrolled: 1-line block ×7, first 2 shown]
	ds_store_b32 v95, v10 offset:88
	ds_store_2addr_b32 v94, v9, v11 offset1:11
	ds_store_b32 v94, v12 offset:88
	ds_store_2addr_b32 v93, v7, v8 offset1:11
	ds_store_b32 v93, v13 offset:88
	global_wb scope:SCOPE_SE
	s_wait_dscnt 0x0
	s_barrier_signal -1
	s_barrier_wait -1
	global_inv scope:SCOPE_SE
	ds_load_2addr_b32 v[7:8], v63 offset1:99
	ds_load_2addr_b32 v[9:10], v6 offset0:82 offset1:181
	ds_load_2addr_b32 v[11:12], v48 offset0:36 offset1:135
	;; [unrolled: 1-line block ×8, first 2 shown]
	global_wb scope:SCOPE_SE
	s_wait_dscnt 0x0
	s_barrier_signal -1
	s_barrier_wait -1
	global_inv scope:SCOPE_SE
	v_lshrrev_b32_e32 v57, 16, v7
	v_lshrrev_b32_e32 v58, 16, v9
	;; [unrolled: 1-line block ×4, first 2 shown]
	v_mul_f16_e64 v99, v133, v9
	v_lshrrev_b32_e32 v62, 16, v12
	v_mul_f16_e64 v97, v133, v58
	v_mul_f16_e64 v107, v132, v59
	v_lshrrev_b32_e32 v88, 16, v15
	v_lshrrev_b32_e32 v89, 16, v17
	;; [unrolled: 1-line block ×3, first 2 shown]
	v_fmac_f16_e32 v97, v29, v9
	v_mul_f16_e64 v9, v132, v11
	v_fma_f16 v29, v29, v58, -v99
	v_mul_f16_e64 v58, v131, v61
	v_fmac_f16_e32 v107, v30, v11
	v_mul_f16_e64 v11, v131, v10
	v_fma_f16 v9, v30, v59, -v9
	v_mul_f16_e64 v30, v130, v62
	v_fmac_f16_e32 v58, v27, v10
	v_mul_f16_e64 v10, v130, v12
	v_fma_f16 v11, v27, v61, -v11
	v_mul_f16_e64 v27, v129, v88
	v_lshrrev_b32_e32 v92, 16, v18
	v_fmac_f16_e32 v30, v28, v12
	v_mul_f16_e64 v12, v129, v15
	v_fma_f16 v10, v28, v62, -v10
	v_mul_f16_e32 v28, v124, v89
	v_fmac_f16_e32 v27, v25, v15
	v_mul_f16_e32 v15, v124, v17
	v_lshrrev_b32_e32 v94, 16, v53
	v_fma_f16 v12, v25, v88, -v12
	v_mul_f16_e32 v25, v123, v91
	v_fmac_f16_e32 v28, v26, v17
	v_mul_f16_e32 v17, v123, v16
	v_fma_f16 v15, v26, v89, -v15
	v_mul_f16_e32 v26, v122, v92
	v_lshrrev_b32_e32 v95, 16, v55
	v_lshrrev_b32_e32 v98, 16, v54
	v_fmac_f16_e32 v25, v23, v16
	v_mul_f16_e32 v16, v122, v18
	v_fma_f16 v17, v23, v91, -v17
	v_mul_f16_e32 v23, v121, v94
	v_fmac_f16_e32 v26, v24, v18
	v_mul_f16_e32 v18, v121, v53
	v_lshrrev_b32_e32 v106, 16, v56
	v_fma_f16 v16, v24, v92, -v16
	v_mul_f16_e32 v24, v120, v95
	v_fmac_f16_e32 v23, v21, v53
	v_mul_f16_e32 v53, v120, v55
	v_fma_f16 v18, v21, v94, -v18
	v_mul_f16_e32 v21, v119, v98
	v_fmac_f16_e32 v24, v22, v55
	v_mul_f16_e32 v55, v119, v54
	;; [unrolled: 4-line block ×3, first 2 shown]
	v_fma_f16 v19, v19, v98, -v55
	v_add_f16_e32 v55, v97, v107
	v_fmac_f16_e32 v53, v20, v56
	v_add_f16_e32 v56, v7, v97
	v_fma_f16 v20, v20, v106, -v54
	v_add_f16_e32 v54, v29, v9
	v_fma_f16 v7, -0.5, v55, v7
	v_sub_f16_e32 v55, v29, v9
	v_add_f16_e32 v29, v57, v29
	v_lshrrev_b32_e32 v60, 16, v8
	v_fmac_f16_e32 v57, -0.5, v54
	v_sub_f16_e32 v54, v97, v107
	v_fmamk_f16 v59, v55, 0xbaee, v7
	v_fmac_f16_e32 v7, 0x3aee, v55
	v_add_f16_e32 v9, v29, v9
	v_add_f16_e32 v29, v58, v30
	v_fmamk_f16 v55, v54, 0x3aee, v57
	v_add_f16_e32 v61, v8, v58
	v_fmac_f16_e32 v57, 0xbaee, v54
	v_add_f16_e32 v54, v11, v10
	v_fmac_f16_e32 v8, -0.5, v29
	v_sub_f16_e32 v29, v11, v10
	v_add_f16_e32 v61, v61, v30
	v_add_f16_e32 v11, v60, v11
	v_fmac_f16_e32 v60, -0.5, v54
	v_sub_f16_e32 v30, v58, v30
	v_lshrrev_b32_e32 v87, 16, v13
	v_fmamk_f16 v54, v29, 0xbaee, v8
	v_fmac_f16_e32 v8, 0x3aee, v29
	v_add_f16_e32 v10, v11, v10
	v_add_f16_e32 v11, v27, v28
	v_fmamk_f16 v29, v30, 0x3aee, v60
	v_fmac_f16_e32 v60, 0xbaee, v30
	v_add_f16_e32 v30, v12, v15
	v_add_f16_e32 v58, v13, v27
	v_fma_f16 v11, -0.5, v11, v13
	v_sub_f16_e32 v13, v12, v15
	v_add_f16_e32 v12, v87, v12
	v_fmac_f16_e32 v87, -0.5, v30
	v_sub_f16_e32 v27, v27, v28
	v_lshrrev_b32_e32 v90, 16, v14
	v_add_f16_e32 v58, v58, v28
	v_fmamk_f16 v28, v13, 0xbaee, v11
	v_fmac_f16_e32 v11, 0x3aee, v13
	v_add_f16_e32 v12, v12, v15
	v_add_f16_e32 v13, v25, v26
	v_fmamk_f16 v15, v27, 0x3aee, v87
	v_fmac_f16_e32 v87, 0xbaee, v27
	v_add_f16_e32 v27, v17, v16
	v_add_f16_e32 v30, v14, v25
	v_fmac_f16_e32 v14, -0.5, v13
	v_sub_f16_e32 v13, v17, v16
	v_add_f16_e32 v17, v90, v17
	v_fmac_f16_e32 v90, -0.5, v27
	v_sub_f16_e32 v25, v25, v26
	v_lshrrev_b32_e32 v93, 16, v51
	v_add_f16_e32 v30, v30, v26
	v_fmamk_f16 v26, v13, 0xbaee, v14
	v_fmac_f16_e32 v14, 0x3aee, v13
	v_add_f16_e32 v13, v17, v16
	v_add_f16_e32 v16, v23, v24
	v_fmamk_f16 v17, v25, 0x3aee, v90
	v_fmac_f16_e32 v90, 0xbaee, v25
	v_add_f16_e32 v25, v18, v22
	v_add_f16_e32 v27, v51, v23
	v_fma_f16 v16, -0.5, v16, v51
	v_sub_f16_e32 v51, v18, v22
	v_add_f16_e32 v18, v93, v18
	v_fmac_f16_e32 v93, -0.5, v25
	v_sub_f16_e32 v23, v23, v24
	v_lshrrev_b32_e32 v96, 16, v52
	v_add_f16_e32 v56, v56, v107
	v_add_f16_e32 v18, v18, v22
	;; [unrolled: 1-line block ×3, first 2 shown]
	v_fmamk_f16 v25, v23, 0x3aee, v93
	v_fmac_f16_e32 v93, 0xbaee, v23
	v_add_f16_e32 v23, v19, v20
	v_add_f16_e32 v27, v27, v24
	v_fmamk_f16 v24, v51, 0xbaee, v16
	v_fmac_f16_e32 v16, 0x3aee, v51
	v_add_f16_e32 v51, v52, v21
	v_fmac_f16_e32 v52, -0.5, v22
	v_sub_f16_e32 v22, v19, v20
	v_add_f16_e32 v19, v96, v19
	v_fmac_f16_e32 v96, -0.5, v23
	v_sub_f16_e32 v21, v21, v53
	v_pack_b32_f16 v9, v56, v9
	v_pack_b32_f16 v7, v7, v57
	v_add_f16_e32 v19, v19, v20
	v_pack_b32_f16 v8, v8, v60
	v_fmamk_f16 v20, v21, 0x3aee, v96
	v_fmac_f16_e32 v96, 0xbaee, v21
	v_pack_b32_f16 v21, v59, v55
	ds_store_2addr_b32 v104, v9, v21 offset1:33
	ds_store_b32 v104, v7 offset:264
	v_pack_b32_f16 v7, v61, v10
	v_pack_b32_f16 v9, v54, v29
	;; [unrolled: 1-line block ×4, first 2 shown]
	v_add_f16_e32 v23, v51, v53
	v_fmamk_f16 v51, v22, 0xbaee, v52
	v_pack_b32_f16 v11, v11, v87
	v_fmac_f16_e32 v52, 0x3aee, v22
	v_pack_b32_f16 v13, v30, v13
	v_pack_b32_f16 v15, v26, v17
	ds_store_2addr_b32 v100, v7, v9 offset1:33
	ds_store_b32 v100, v8 offset:264
	ds_store_2addr_b32 v105, v10, v12 offset1:33
	ds_store_b32 v105, v11 offset:264
	ds_store_2addr_b32 v103, v13, v15 offset1:33
	v_pack_b32_f16 v7, v14, v90
	v_pack_b32_f16 v8, v27, v18
	;; [unrolled: 1-line block ×7, first 2 shown]
	ds_store_b32 v103, v7 offset:264
	ds_store_2addr_b32 v102, v8, v9 offset1:33
	ds_store_b32 v102, v10 offset:264
	ds_store_2addr_b32 v101, v11, v12 offset1:33
	ds_store_b32 v101, v13 offset:264
	global_wb scope:SCOPE_SE
	s_wait_dscnt 0x0
	s_barrier_signal -1
	s_barrier_wait -1
	global_inv scope:SCOPE_SE
	ds_load_2addr_b32 v[7:8], v63 offset1:99
	ds_load_2addr_b32 v[9:10], v6 offset0:82 offset1:181
	ds_load_2addr_b32 v[11:12], v48 offset0:36 offset1:135
	ds_load_2addr_b32 v[13:14], v49 offset0:70 offset1:169
	ds_load_2addr_b32 v[15:16], v47 offset0:24 offset1:123
	ds_load_2addr_b32 v[17:18], v3 offset0:106 offset1:205
	ds_load_2addr_b32 v[19:20], v5 offset0:140 offset1:239
	ds_load_2addr_b32 v[21:22], v4 offset0:94 offset1:193
	ds_load_2addr_b32 v[23:24], v50 offset0:48 offset1:147
	global_wb scope:SCOPE_SE
	s_wait_dscnt 0x0
	s_barrier_signal -1
	s_barrier_wait -1
	global_inv scope:SCOPE_SE
	v_lshrrev_b32_e32 v25, 16, v7
	v_lshrrev_b32_e32 v26, 16, v9
	;; [unrolled: 1-line block ×5, first 2 shown]
	v_mul_f16_e64 v87, v143, v9
	v_mul_f16_e64 v61, v143, v26
	v_mul_f16_e64 v89, v142, v27
	v_lshrrev_b32_e32 v52, 16, v15
	v_lshrrev_b32_e32 v53, 16, v17
	v_fma_f16 v26, v39, v26, -v87
	v_fmac_f16_e32 v61, v39, v9
	v_mul_f16_e64 v9, v142, v11
	v_mul_f16_e64 v87, v143, v29
	v_fmac_f16_e32 v89, v40, v11
	v_mul_f16_e64 v11, v143, v10
	v_lshrrev_b32_e32 v55, 16, v16
	v_fma_f16 v9, v40, v27, -v9
	v_mul_f16_e64 v27, v142, v30
	v_fmac_f16_e32 v87, v39, v10
	v_mul_f16_e64 v10, v142, v12
	v_fma_f16 v11, v39, v29, -v11
	v_mul_f16_e64 v29, v141, v52
	v_fmac_f16_e32 v27, v40, v12
	v_mul_f16_e64 v12, v141, v15
	v_lshrrev_b32_e32 v56, 16, v18
	v_fma_f16 v10, v40, v30, -v10
	v_mul_f16_e64 v30, v140, v53
	v_fmac_f16_e32 v29, v37, v15
	v_mul_f16_e64 v15, v140, v17
	v_fma_f16 v12, v37, v52, -v12
	v_mul_f16_e64 v37, v139, v55
	v_lshrrev_b32_e32 v58, 16, v21
	v_lshrrev_b32_e32 v59, 16, v23
	v_fmac_f16_e32 v30, v38, v17
	v_mul_f16_e64 v17, v139, v16
	v_fma_f16 v15, v38, v53, -v15
	v_mul_f16_e64 v38, v138, v56
	v_fmac_f16_e32 v37, v35, v16
	v_mul_f16_e64 v16, v138, v18
	v_lshrrev_b32_e32 v62, 16, v22
	v_fma_f16 v17, v35, v55, -v17
	v_mul_f16_e64 v35, v137, v58
	v_fmac_f16_e32 v38, v36, v18
	v_mul_f16_e64 v18, v137, v21
	v_fma_f16 v16, v36, v56, -v16
	v_mul_f16_e64 v36, v136, v59
	v_lshrrev_b32_e32 v88, 16, v24
	v_fmac_f16_e32 v35, v33, v21
	v_mul_f16_e64 v21, v136, v23
	v_fma_f16 v18, v33, v58, -v18
	v_mul_f16_e64 v33, v135, v62
	v_fmac_f16_e32 v36, v34, v23
	v_mul_f16_e64 v23, v135, v22
	v_fma_f16 v21, v34, v59, -v21
	v_mul_f16_e64 v34, v134, v88
	v_fmac_f16_e32 v33, v31, v22
	v_mul_f16_e64 v22, v134, v24
	v_fma_f16 v23, v31, v62, -v23
	v_add_f16_e32 v31, v61, v89
	v_fmac_f16_e32 v34, v32, v24
	v_add_f16_e32 v24, v7, v61
	v_fma_f16 v22, v32, v88, -v22
	v_add_f16_e32 v32, v26, v9
	v_fma_f16 v7, -0.5, v31, v7
	v_sub_f16_e32 v31, v26, v9
	v_add_f16_e32 v26, v25, v26
	v_lshrrev_b32_e32 v28, 16, v8
	v_fmac_f16_e32 v25, -0.5, v32
	v_sub_f16_e32 v32, v61, v89
	v_fmamk_f16 v39, v31, 0xbaee, v7
	v_add_f16_e32 v9, v26, v9
	v_add_f16_e32 v26, v87, v27
	v_fmac_f16_e32 v7, 0x3aee, v31
	v_fmamk_f16 v31, v32, 0x3aee, v25
	v_add_f16_e32 v40, v8, v87
	v_fmac_f16_e32 v25, 0xbaee, v32
	v_add_f16_e32 v32, v11, v10
	v_fmac_f16_e32 v8, -0.5, v26
	v_sub_f16_e32 v26, v11, v10
	v_add_f16_e32 v11, v28, v11
	v_add_f16_e32 v40, v40, v27
	v_fmac_f16_e32 v28, -0.5, v32
	v_sub_f16_e32 v27, v87, v27
	v_lshrrev_b32_e32 v51, 16, v13
	v_add_f16_e32 v10, v11, v10
	v_add_f16_e32 v11, v29, v30
	v_fmamk_f16 v32, v26, 0xbaee, v8
	v_fmac_f16_e32 v8, 0x3aee, v26
	v_fmamk_f16 v26, v27, 0x3aee, v28
	v_add_f16_e32 v52, v13, v29
	v_fmac_f16_e32 v28, 0xbaee, v27
	v_add_f16_e32 v27, v12, v15
	v_fma_f16 v11, -0.5, v11, v13
	v_sub_f16_e32 v13, v12, v15
	v_lshrrev_b32_e32 v54, 16, v14
	v_add_f16_e32 v12, v51, v12
	v_fmac_f16_e32 v51, -0.5, v27
	v_sub_f16_e32 v27, v29, v30
	v_fmamk_f16 v29, v13, 0xbaee, v11
	v_fmac_f16_e32 v11, 0x3aee, v13
	v_add_f16_e32 v13, v37, v38
	v_add_f16_e32 v52, v52, v30
	;; [unrolled: 1-line block ×3, first 2 shown]
	v_fmamk_f16 v15, v27, 0x3aee, v51
	v_add_f16_e32 v30, v14, v37
	v_fmac_f16_e32 v51, 0xbaee, v27
	v_add_f16_e32 v27, v17, v16
	v_fmac_f16_e32 v14, -0.5, v13
	v_sub_f16_e32 v13, v17, v16
	v_add_f16_e32 v17, v54, v17
	v_lshrrev_b32_e32 v57, 16, v19
	v_fmac_f16_e32 v54, -0.5, v27
	v_sub_f16_e32 v27, v37, v38
	v_fmamk_f16 v37, v13, 0xbaee, v14
	v_fmac_f16_e32 v14, 0x3aee, v13
	v_add_f16_e32 v13, v17, v16
	v_add_f16_e32 v16, v35, v36
	v_add_f16_e32 v30, v30, v38
	v_fmamk_f16 v17, v27, 0x3aee, v54
	v_add_f16_e32 v38, v19, v35
	v_fmac_f16_e32 v54, 0xbaee, v27
	v_add_f16_e32 v27, v18, v21
	v_fma_f16 v16, -0.5, v16, v19
	v_sub_f16_e32 v19, v18, v21
	v_lshrrev_b32_e32 v60, 16, v20
	v_add_f16_e32 v18, v57, v18
	v_fmac_f16_e32 v57, -0.5, v27
	v_sub_f16_e32 v27, v35, v36
	v_fmamk_f16 v35, v19, 0xbaee, v16
	v_fmac_f16_e32 v16, 0x3aee, v19
	v_add_f16_e32 v19, v33, v34
	v_add_f16_e32 v24, v24, v89
	;; [unrolled: 1-line block ×4, first 2 shown]
	v_fmamk_f16 v21, v27, 0x3aee, v57
	v_fmac_f16_e32 v57, 0xbaee, v27
	v_add_f16_e32 v27, v23, v22
	v_add_f16_e32 v36, v20, v33
	v_fmac_f16_e32 v20, -0.5, v19
	v_sub_f16_e32 v19, v23, v22
	v_add_f16_e32 v23, v60, v23
	v_fmac_f16_e32 v60, -0.5, v27
	v_sub_f16_e32 v27, v33, v34
	v_add_f16_e32 v33, v36, v34
	v_fmamk_f16 v34, v19, 0xbaee, v20
	v_fmac_f16_e32 v20, 0x3aee, v19
	v_add_f16_e32 v19, v23, v22
	v_pack_b32_f16 v9, v24, v9
	v_pack_b32_f16 v23, v39, v31
	;; [unrolled: 1-line block ×4, first 2 shown]
	v_fmamk_f16 v22, v27, 0x3aee, v60
	v_pack_b32_f16 v12, v52, v12
	ds_store_2addr_b32 v63, v9, v23 offset1:99
	v_pack_b32_f16 v9, v40, v10
	v_pack_b32_f16 v10, v32, v26
	;; [unrolled: 1-line block ×3, first 2 shown]
	v_add_nc_u32_e32 v23, 0x800, v125
	v_pack_b32_f16 v13, v30, v13
	v_pack_b32_f16 v17, v37, v17
	v_add_nc_u32_e32 v24, 0xc00, v126
	ds_store_2addr_b32 v49, v7, v9 offset0:70 offset1:169
	ds_store_2addr_b32 v5, v10, v8 offset0:140 offset1:239
	;; [unrolled: 1-line block ×3, first 2 shown]
	v_pack_b32_f16 v8, v38, v18
	v_pack_b32_f16 v9, v35, v21
	v_add_nc_u32_e32 v10, 0x1200, v127
	v_fmac_f16_e32 v60, 0xbaee, v27
	v_pack_b32_f16 v7, v11, v51
	ds_store_2addr_b32 v24, v13, v17 offset0:123 offset1:222
	v_pack_b32_f16 v11, v33, v19
	v_pack_b32_f16 v12, v34, v22
	v_add_nc_u32_e32 v13, 0x1600, v128
	v_pack_b32_f16 v14, v14, v54
	ds_store_2addr_b32 v10, v8, v9 offset0:36 offset1:135
	v_pack_b32_f16 v8, v16, v57
	v_pack_b32_f16 v9, v20, v60
	ds_store_2addr_b32 v13, v11, v12 offset0:77 offset1:176
	ds_store_b32 v125, v7 offset:3168
	ds_store_b32 v126, v14 offset:4356
	;; [unrolled: 1-line block ×4, first 2 shown]
	global_wb scope:SCOPE_SE
	s_wait_dscnt 0x0
	s_barrier_signal -1
	s_barrier_wait -1
	global_inv scope:SCOPE_SE
	ds_load_2addr_b32 v[7:8], v63 offset1:99
	ds_load_2addr_b32 v[9:10], v6 offset0:82 offset1:181
	ds_load_2addr_b32 v[11:12], v48 offset0:36 offset1:135
	ds_load_2addr_b32 v[13:14], v49 offset0:70 offset1:169
	ds_load_2addr_b32 v[15:16], v47 offset0:24 offset1:123
	ds_load_2addr_b32 v[17:18], v3 offset0:106 offset1:205
	ds_load_2addr_b32 v[19:20], v5 offset0:140 offset1:239
	ds_load_2addr_b32 v[21:22], v4 offset0:94 offset1:193
	ds_load_2addr_b32 v[23:24], v50 offset0:48 offset1:147
	global_wb scope:SCOPE_SE
	s_wait_dscnt 0x0
	s_barrier_signal -1
	s_barrier_wait -1
	global_inv scope:SCOPE_SE
	v_lshrrev_b32_e32 v25, 16, v7
	v_lshrrev_b32_e32 v26, 16, v9
	;; [unrolled: 1-line block ×4, first 2 shown]
	v_mul_f16_e64 v53, v155, v9
	v_lshrrev_b32_e32 v30, 16, v12
	v_mul_f16_e64 v51, v155, v26
	v_mul_f16_e64 v55, v154, v27
	v_lshrrev_b32_e32 v32, 16, v15
	v_fma_f16 v26, v45, v26, -v53
	v_mul_f16_e64 v53, v153, v29
	v_fmac_f16_e32 v51, v45, v9
	v_mul_f16_e64 v9, v154, v11
	v_fmac_f16_e32 v55, v46, v11
	v_mul_f16_e64 v11, v153, v10
	v_lshrrev_b32_e32 v33, 16, v17
	v_fmac_f16_e32 v53, v43, v10
	v_fma_f16 v9, v46, v27, -v9
	v_mul_f16_e64 v27, v152, v30
	v_mul_f16_e64 v10, v152, v12
	v_fma_f16 v11, v43, v29, -v11
	v_mul_f16_e64 v29, v151, v32
	v_lshrrev_b32_e32 v35, 16, v16
	v_fmac_f16_e32 v27, v44, v12
	v_mul_f16_e64 v12, v151, v15
	v_lshrrev_b32_e32 v36, 16, v18
	v_fma_f16 v10, v44, v30, -v10
	v_mul_f16_e64 v30, v150, v33
	v_fmac_f16_e32 v29, v41, v15
	v_mul_f16_e64 v15, v150, v17
	v_fma_f16 v12, v41, v32, -v12
	v_mul_f16_e64 v32, v155, v35
	v_lshrrev_b32_e32 v38, 16, v21
	v_fmac_f16_e32 v30, v42, v17
	v_mul_f16_e64 v17, v155, v16
	v_fma_f16 v15, v42, v33, -v15
	v_mul_f16_e64 v33, v154, v36
	v_lshrrev_b32_e32 v39, 16, v23
	v_fmac_f16_e32 v32, v45, v16
	v_mul_f16_e64 v16, v154, v18
	v_lshrrev_b32_e32 v52, 16, v22
	v_fma_f16 v17, v45, v35, -v17
	v_mul_f16_e64 v35, v153, v38
	v_fmac_f16_e32 v33, v46, v18
	v_mul_f16_e64 v18, v153, v21
	v_fma_f16 v16, v46, v36, -v16
	v_mul_f16_e64 v36, v152, v39
	v_lshrrev_b32_e32 v54, 16, v24
	v_fmac_f16_e32 v35, v43, v21
	v_mul_f16_e64 v21, v152, v23
	v_fma_f16 v18, v43, v38, -v18
	v_mul_f16_e64 v38, v151, v52
	v_fmac_f16_e32 v36, v44, v23
	v_mul_f16_e64 v23, v151, v22
	v_fma_f16 v21, v44, v39, -v21
	v_mul_f16_e64 v39, v150, v54
	v_fmac_f16_e32 v38, v41, v22
	v_mul_f16_e64 v22, v150, v24
	v_fma_f16 v23, v41, v52, -v23
	v_add_f16_e32 v41, v51, v55
	v_fmac_f16_e32 v39, v42, v24
	v_add_f16_e32 v24, v7, v51
	v_fma_f16 v22, v42, v54, -v22
	v_add_f16_e32 v42, v26, v9
	v_fma_f16 v7, -0.5, v41, v7
	v_sub_f16_e32 v41, v26, v9
	v_add_f16_e32 v26, v25, v26
	v_lshrrev_b32_e32 v28, 16, v8
	v_fmac_f16_e32 v25, -0.5, v42
	v_sub_f16_e32 v42, v51, v55
	v_fmamk_f16 v43, v41, 0xbaee, v7
	v_add_f16_e32 v9, v26, v9
	v_add_f16_e32 v26, v53, v27
	v_fmac_f16_e32 v7, 0x3aee, v41
	v_fmamk_f16 v41, v42, 0x3aee, v25
	v_add_f16_e32 v44, v8, v53
	v_fmac_f16_e32 v25, 0xbaee, v42
	v_add_f16_e32 v42, v11, v10
	v_fmac_f16_e32 v8, -0.5, v26
	v_sub_f16_e32 v26, v11, v10
	v_add_f16_e32 v11, v28, v11
	v_add_f16_e32 v44, v44, v27
	v_fmac_f16_e32 v28, -0.5, v42
	v_sub_f16_e32 v27, v53, v27
	v_lshrrev_b32_e32 v31, 16, v13
	v_add_f16_e32 v10, v11, v10
	v_add_f16_e32 v11, v29, v30
	v_fmamk_f16 v42, v26, 0xbaee, v8
	v_fmac_f16_e32 v8, 0x3aee, v26
	v_fmamk_f16 v26, v27, 0x3aee, v28
	v_fmac_f16_e32 v28, 0xbaee, v27
	v_add_f16_e32 v27, v12, v15
	v_add_f16_e32 v45, v13, v29
	v_fma_f16 v11, -0.5, v11, v13
	v_sub_f16_e32 v13, v12, v15
	v_add_f16_e32 v12, v31, v12
	v_fmac_f16_e32 v31, -0.5, v27
	v_sub_f16_e32 v27, v29, v30
	v_lshrrev_b32_e32 v34, 16, v14
	v_fmamk_f16 v29, v13, 0xbaee, v11
	v_fmac_f16_e32 v11, 0x3aee, v13
	v_add_f16_e32 v13, v32, v33
	v_add_f16_e32 v12, v12, v15
	v_fmamk_f16 v15, v27, 0x3aee, v31
	v_fmac_f16_e32 v31, 0xbaee, v27
	v_add_f16_e32 v27, v17, v16
	v_add_f16_e32 v45, v45, v30
	;; [unrolled: 1-line block ×3, first 2 shown]
	v_fmac_f16_e32 v14, -0.5, v13
	v_sub_f16_e32 v13, v17, v16
	v_add_f16_e32 v17, v34, v17
	v_fmac_f16_e32 v34, -0.5, v27
	v_sub_f16_e32 v27, v32, v33
	v_lshrrev_b32_e32 v37, 16, v19
	v_fmamk_f16 v32, v13, 0xbaee, v14
	v_fmac_f16_e32 v14, 0x3aee, v13
	v_add_f16_e32 v13, v17, v16
	v_add_f16_e32 v16, v35, v36
	v_fmamk_f16 v17, v27, 0x3aee, v34
	v_fmac_f16_e32 v34, 0xbaee, v27
	v_add_f16_e32 v27, v18, v21
	v_add_f16_e32 v30, v30, v33
	;; [unrolled: 1-line block ×3, first 2 shown]
	v_fma_f16 v16, -0.5, v16, v19
	v_sub_f16_e32 v19, v18, v21
	v_add_f16_e32 v18, v37, v18
	v_fmac_f16_e32 v37, -0.5, v27
	v_sub_f16_e32 v27, v35, v36
	v_lshrrev_b32_e32 v40, 16, v20
	v_fmamk_f16 v35, v19, 0xbaee, v16
	v_fmac_f16_e32 v16, 0x3aee, v19
	v_add_f16_e32 v19, v38, v39
	v_add_f16_e32 v18, v18, v21
	v_fmamk_f16 v21, v27, 0x3aee, v37
	v_fmac_f16_e32 v37, 0xbaee, v27
	v_add_f16_e32 v27, v23, v22
	v_add_f16_e32 v24, v24, v55
	;; [unrolled: 1-line block ×4, first 2 shown]
	v_fmac_f16_e32 v20, -0.5, v19
	v_sub_f16_e32 v19, v23, v22
	v_add_f16_e32 v23, v40, v23
	v_fmac_f16_e32 v40, -0.5, v27
	v_sub_f16_e32 v27, v38, v39
	v_pack_b32_f16 v9, v24, v9
	v_pack_b32_f16 v10, v44, v10
	;; [unrolled: 1-line block ×4, first 2 shown]
	v_add_f16_e32 v36, v36, v39
	v_fmamk_f16 v38, v19, 0xbaee, v20
	v_fmac_f16_e32 v20, 0x3aee, v19
	v_add_f16_e32 v19, v23, v22
	v_pack_b32_f16 v23, v43, v41
	v_pack_b32_f16 v12, v45, v12
	v_fmamk_f16 v22, v27, 0x3aee, v40
	v_pack_b32_f16 v24, v42, v26
	v_pack_b32_f16 v15, v29, v15
	v_fmac_f16_e32 v40, 0xbaee, v27
	ds_store_2addr_b32 v63, v9, v10 offset1:99
	ds_store_2addr_b32 v6, v7, v8 offset0:82 offset1:181
	ds_store_2addr_b32 v49, v12, v23 offset0:70 offset1:169
	ds_store_2addr_b32 v5, v24, v15 offset0:140 offset1:239
	v_pack_b32_f16 v7, v11, v31
	v_pack_b32_f16 v8, v30, v13
	;; [unrolled: 1-line block ×10, first 2 shown]
	ds_store_2addr_b32 v47, v7, v8 offset0:24 offset1:123
	ds_store_2addr_b32 v48, v9, v12 offset0:36 offset1:135
	;; [unrolled: 1-line block ×5, first 2 shown]
	global_wb scope:SCOPE_SE
	s_wait_dscnt 0x0
	s_barrier_signal -1
	s_barrier_wait -1
	global_inv scope:SCOPE_SE
	ds_load_2addr_b32 v[7:8], v63 offset1:99
	ds_load_2addr_b32 v[9:10], v47 offset0:24 offset1:123
	ds_load_2addr_b32 v[11:12], v4 offset0:94 offset1:193
	ds_load_2addr_b32 v[13:14], v49 offset0:70 offset1:169
	ds_load_2addr_b32 v[15:16], v48 offset0:36 offset1:135
	ds_load_2addr_b32 v[17:18], v5 offset0:140 offset1:239
	ds_load_2addr_b32 v[19:20], v3 offset0:106 offset1:205
	ds_load_2addr_b32 v[21:22], v6 offset0:82 offset1:181
	ds_load_2addr_b32 v[23:24], v50 offset0:48 offset1:147
	s_wait_dscnt 0x8
	v_lshrrev_b32_e32 v25, 16, v7
	s_wait_dscnt 0x7
	v_lshrrev_b32_e32 v26, 16, v10
	;; [unrolled: 2-line block ×3, first 2 shown]
	v_lshrrev_b32_e32 v30, 16, v12
	v_mul_f16_e64 v44, v167, v10
	s_wait_dscnt 0x4
	v_lshrrev_b32_e32 v32, 16, v15
	v_mul_f16_e64 v40, v167, v26
	v_mul_f16_e64 v45, v166, v11
	;; [unrolled: 1-line block ×3, first 2 shown]
	v_fma_f16 v26, v158, v26, -v44
	v_mul_f16_e64 v44, v165, v12
	v_fmac_f16_e64 v40, v158, v10
	v_mul_f16_e64 v10, v166, v28
	v_lshrrev_b32_e32 v34, 16, v16
	s_wait_dscnt 0x2
	v_lshrrev_b32_e32 v36, 16, v19
	v_fmac_f16_e64 v46, v156, v12
	v_mul_f16_e64 v12, v164, v32
	v_fmac_f16_e64 v10, v157, v11
	v_fma_f16 v11, v157, v28, -v45
	v_fma_f16 v28, v156, v30, -v44
	v_mul_f16_e64 v30, v164, v15
	v_lshrrev_b32_e32 v38, 16, v20
	s_wait_dscnt 0x0
	v_lshrrev_b32_e32 v41, 16, v23
	v_mul_f16_e64 v44, v163, v34
	v_mul_f16_e64 v45, v163, v16
	v_fmac_f16_e64 v12, v149, v15
	v_mul_f16_e64 v15, v162, v36
	v_fma_f16 v30, v149, v32, -v30
	v_mul_f16_e64 v32, v162, v19
	v_lshrrev_b32_e32 v43, 16, v24
	v_fmac_f16_e64 v44, v148, v16
	v_fma_f16 v16, v148, v34, -v45
	v_fmac_f16_e64 v15, v147, v19
	v_mul_f16_e64 v19, v161, v38
	v_mul_f16_e64 v34, v161, v20
	;; [unrolled: 1-line block ×3, first 2 shown]
	v_fma_f16 v32, v147, v36, -v32
	v_mul_f16_e64 v36, v160, v23
	v_lshrrev_b32_e32 v27, 16, v8
	v_lshrrev_b32_e32 v29, 16, v13
	v_fmac_f16_e64 v19, v146, v20
	v_fma_f16 v20, v146, v38, -v34
	v_fmac_f16_e64 v45, v145, v23
	v_mul_f16_e64 v23, v159, v43
	v_fma_f16 v34, v145, v41, -v36
	v_mul_f16_e64 v36, v159, v24
	v_lshrrev_b32_e32 v31, 16, v14
	v_lshrrev_b32_e32 v33, 16, v17
	;; [unrolled: 1-line block ×3, first 2 shown]
	v_sub_f16_e32 v38, v7, v40
	v_sub_f16_e32 v26, v25, v26
	;; [unrolled: 1-line block ×4, first 2 shown]
	v_fmac_f16_e64 v23, v144, v24
	v_fma_f16 v24, v144, v43, -v36
	v_sub_f16_e32 v36, v13, v46
	v_sub_f16_e32 v28, v29, v28
	v_lshrrev_b32_e32 v37, 16, v21
	v_lshrrev_b32_e32 v39, 16, v22
	v_sub_f16_e32 v12, v14, v12
	v_sub_f16_e32 v30, v31, v30
	v_lshrrev_b32_e32 v42, 16, v9
	v_fma_f16 v7, v7, 2.0, -v38
	v_fma_f16 v25, v25, 2.0, -v26
	;; [unrolled: 1-line block ×4, first 2 shown]
	v_sub_f16_e32 v40, v17, v44
	v_sub_f16_e32 v16, v33, v16
	;; [unrolled: 1-line block ×4, first 2 shown]
	v_fma_f16 v13, v13, 2.0, -v36
	v_fma_f16 v29, v29, 2.0, -v28
	;; [unrolled: 1-line block ×4, first 2 shown]
	v_sub_f16_e32 v19, v21, v19
	v_sub_f16_e32 v20, v37, v20
	;; [unrolled: 1-line block ×6, first 2 shown]
	v_fma_f16 v17, v17, 2.0, -v40
	v_fma_f16 v33, v33, 2.0, -v16
	;; [unrolled: 1-line block ×4, first 2 shown]
	v_pack_b32_f16 v7, v7, v25
	v_pack_b32_f16 v8, v8, v27
	;; [unrolled: 1-line block ×7, first 2 shown]
	v_fma_f16 v21, v21, 2.0, -v19
	v_fma_f16 v37, v37, 2.0, -v20
	;; [unrolled: 1-line block ×4, first 2 shown]
	v_pack_b32_f16 v14, v14, v31
	v_fma_f16 v9, v9, 2.0, -v23
	v_fma_f16 v42, v42, 2.0, -v24
	ds_store_2addr_b32 v63, v7, v8 offset1:99
	ds_store_2addr_b32 v4, v10, v13 offset0:94 offset1:193
	ds_store_2addr_b32 v49, v11, v14 offset0:70 offset1:169
	v_pack_b32_f16 v7, v17, v33
	v_pack_b32_f16 v8, v18, v35
	ds_store_2addr_b32 v48, v12, v16 offset0:36 offset1:135
	v_pack_b32_f16 v10, v15, v32
	v_pack_b32_f16 v12, v19, v20
	;; [unrolled: 1-line block ×8, first 2 shown]
	ds_store_2addr_b32 v5, v7, v8 offset0:140 offset1:239
	ds_store_2addr_b32 v3, v10, v12 offset0:106 offset1:205
	;; [unrolled: 1-line block ×5, first 2 shown]
	global_wb scope:SCOPE_SE
	s_wait_dscnt 0x0
	s_barrier_signal -1
	s_barrier_wait -1
	global_inv scope:SCOPE_SE
	ds_load_2addr_b32 v[6:7], v63 offset1:162
	s_wait_dscnt 0x0
	v_lshrrev_b32_e32 v10, 16, v6
	s_delay_alu instid0(VALU_DEP_1) | instskip(NEXT) | instid1(VALU_DEP_1)
	v_mul_f16_e32 v8, v86, v10
	v_fmac_f16_e32 v8, v84, v6
	v_mul_f16_e32 v6, v86, v6
	s_delay_alu instid0(VALU_DEP_2) | instskip(NEXT) | instid1(VALU_DEP_2)
	v_cvt_f32_f16_e32 v8, v8
	v_fma_f16 v6, v84, v10, -v6
	s_delay_alu instid0(VALU_DEP_2) | instskip(NEXT) | instid1(VALU_DEP_2)
	v_cvt_f64_f32_e32 v[8:9], v8
	v_cvt_f32_f16_e32 v6, v6
	s_delay_alu instid0(VALU_DEP_1) | instskip(SKIP_1) | instid1(VALU_DEP_1)
	v_cvt_f64_f32_e32 v[10:11], v6
	v_lshrrev_b32_e32 v6, 16, v7
	v_mul_f16_e32 v12, v85, v6
	s_delay_alu instid0(VALU_DEP_1) | instskip(SKIP_1) | instid1(VALU_DEP_2)
	v_fmac_f16_e32 v12, v82, v7
	v_mul_f16_e32 v7, v85, v7
	v_cvt_f32_f16_e32 v12, v12
	s_delay_alu instid0(VALU_DEP_2) | instskip(NEXT) | instid1(VALU_DEP_2)
	v_fma_f16 v6, v82, v6, -v7
	v_cvt_f64_f32_e32 v[12:13], v12
	s_delay_alu instid0(VALU_DEP_2) | instskip(SKIP_3) | instid1(VALU_DEP_4)
	v_cvt_f32_f16_e32 v6, v6
	s_wait_alu 0xfffe
	v_mul_f64_e32 v[8:9], s[8:9], v[8:9]
	v_mul_f64_e32 v[10:11], s[8:9], v[10:11]
	;; [unrolled: 1-line block ×3, first 2 shown]
	s_delay_alu instid0(VALU_DEP_3) | instskip(SKIP_2) | instid1(VALU_DEP_3)
	v_and_or_b32 v8, 0x1ff, v9, v8
	v_lshrrev_b32_e32 v14, 8, v9
	v_bfe_u32 v15, v9, 20, 11
	v_cmp_ne_u32_e64 s0, 0, v8
	v_and_or_b32 v10, 0x1ff, v11, v10
	v_lshrrev_b32_e32 v18, 8, v11
	v_bfe_u32 v19, v11, 20, 11
	v_add_nc_u32_e32 v20, 0xfffffc10, v15
	s_wait_alu 0xf1ff
	v_cndmask_b32_e64 v8, 0, 1, s0
	v_cmp_ne_u32_e64 s0, 0, v10
	v_lshrrev_b32_e32 v11, 16, v11
	s_delay_alu instid0(VALU_DEP_3) | instskip(SKIP_3) | instid1(VALU_DEP_3)
	v_and_or_b32 v8, 0xffe, v14, v8
	v_sub_nc_u32_e32 v14, 0x3f1, v15
	s_wait_alu 0xf1ff
	v_cndmask_b32_e64 v10, 0, 1, s0
	v_or_b32_e32 v16, 0x1000, v8
	s_delay_alu instid0(VALU_DEP_3) | instskip(NEXT) | instid1(VALU_DEP_3)
	v_med3_i32 v14, v14, 0, 13
	v_and_or_b32 v10, 0xffe, v18, v10
	v_sub_nc_u32_e32 v18, 0x3f1, v19
	s_delay_alu instid0(VALU_DEP_3) | instskip(NEXT) | instid1(VALU_DEP_3)
	v_lshrrev_b32_e32 v17, v14, v16
	v_or_b32_e32 v21, 0x1000, v10
	s_delay_alu instid0(VALU_DEP_2) | instskip(NEXT) | instid1(VALU_DEP_1)
	v_lshlrev_b32_e32 v14, v14, v17
	v_cmp_ne_u32_e64 s0, v14, v16
	v_med3_i32 v16, v18, 0, 13
	v_lshl_or_b32 v18, v20, 12, v8
	v_mad_co_u64_u32 v[14:15], null, s6, v2, 0
	s_wait_alu 0xf1ff
	v_cndmask_b32_e64 v7, 0, 1, s0
	v_lshrrev_b32_e32 v22, v16, v21
	v_cmp_gt_i32_e64 s0, 1, v20
	s_delay_alu instid0(VALU_DEP_3) | instskip(SKIP_2) | instid1(VALU_DEP_2)
	v_or_b32_e32 v17, v17, v7
	v_cvt_f64_f32_e32 v[6:7], v6
	s_wait_alu 0xf1ff
	v_cndmask_b32_e64 v23, v18, v17, s0
	v_lshlrev_b32_e32 v18, v16, v22
	ds_load_2addr_b32 v[16:17], v5 offset0:68 offset1:230
	v_dual_mov_b32 v5, v15 :: v_dual_and_b32 v24, 7, v23
	v_cmp_ne_u32_e64 s0, v18, v21
	v_add_nc_u32_e32 v21, 0xfffffc10, v19
	s_delay_alu instid0(VALU_DEP_3) | instskip(SKIP_1) | instid1(VALU_DEP_3)
	v_cmp_eq_u32_e64 s1, 3, v24
	s_wait_alu 0xf1ff
	v_cndmask_b32_e64 v18, 0, 1, s0
	v_cmp_lt_i32_e64 s0, 5, v24
	v_cmp_gt_i32_e64 s2, 1, v21
	v_bfe_u32 v24, v13, 20, 11
	s_delay_alu instid0(VALU_DEP_4) | instskip(SKIP_4) | instid1(VALU_DEP_3)
	v_or_b32_e32 v15, v22, v18
	v_lshl_or_b32 v22, v21, 12, v10
	s_or_b32 s0, s1, s0
	v_mad_co_u64_u32 v[18:19], null, s7, v2, v[5:6]
	v_lshrrev_b32_e32 v2, 2, v23
	v_cndmask_b32_e64 v5, v22, v15, s2
	s_wait_dscnt 0x0
	v_lshrrev_b32_e32 v19, 16, v16
	v_lshrrev_b32_e32 v23, 8, v13
	s_mul_u64 s[6:7], s[4:5], 0xa2
	s_wait_alu 0xfffe
	v_add_co_ci_u32_e64 v2, s0, 0, v2, s0
	v_cmp_ne_u32_e64 s0, 0, v8
	v_and_b32_e32 v15, 7, v5
	s_lshl_b64 s[6:7], s[6:7], 2
	s_delay_alu instid0(VALU_DEP_2) | instskip(SKIP_1) | instid1(VALU_DEP_3)
	v_cndmask_b32_e64 v8, 0, 1, s0
	v_cmp_gt_i32_e64 s0, 31, v20
	v_cmp_eq_u32_e64 s1, 3, v15
	s_delay_alu instid0(VALU_DEP_3) | instskip(SKIP_1) | instid1(VALU_DEP_3)
	v_lshl_or_b32 v22, v8, 9, 0x7c00
	s_wait_alu 0xf1ff
	v_cndmask_b32_e64 v2, 0x7c00, v2, s0
	v_cmp_lt_i32_e64 s0, 5, v15
	v_lshrrev_b32_e32 v15, 2, v5
	v_mul_f16_e32 v8, v83, v19
	v_mul_f64_e32 v[5:6], s[8:9], v[6:7]
	v_and_or_b32 v7, 0x1ff, v13, v12
	s_or_b32 s0, s1, s0
	v_lshrrev_b32_e32 v13, 16, v13
	s_wait_alu 0xfffe
	v_add_co_ci_u32_e64 v12, s0, 0, v15, s0
	v_fmac_f16_e32 v8, v80, v16
	v_cmp_ne_u32_e64 s0, 0, v7
	s_delay_alu instid0(VALU_DEP_2) | instskip(SKIP_1) | instid1(VALU_DEP_2)
	v_cvt_f32_f16_e32 v8, v8
	s_wait_alu 0xf1ff
	v_cndmask_b32_e64 v15, 0, 1, s0
	v_cmp_ne_u32_e64 s0, 0, v10
	s_delay_alu instid0(VALU_DEP_3) | instskip(NEXT) | instid1(VALU_DEP_3)
	v_cvt_f64_f32_e32 v[7:8], v8
	v_and_or_b32 v23, 0xffe, v23, v15
	s_wait_alu 0xf1ff
	s_delay_alu instid0(VALU_DEP_3) | instskip(SKIP_3) | instid1(VALU_DEP_4)
	v_cndmask_b32_e64 v10, 0, 1, s0
	v_cmp_gt_i32_e64 s0, 31, v21
	v_sub_nc_u32_e32 v15, 0x3f1, v24
	v_or_b32_e32 v25, 0x1000, v23
	v_lshl_or_b32 v10, v10, 9, 0x7c00
	s_wait_alu 0xf1ff
	v_cndmask_b32_e64 v12, 0x7c00, v12, s0
	v_cmp_eq_u32_e64 s0, 0x40f, v20
	v_med3_i32 v26, v15, 0, 13
	v_lshrrev_b32_e32 v20, 16, v9
	v_mov_b32_e32 v15, v18
	s_wait_alu 0xf1ff
	v_cndmask_b32_e64 v2, v2, v22, s0
	v_cmp_eq_u32_e64 s0, 0x40f, v21
	v_lshrrev_b32_e32 v21, v26, v25
	v_lshlrev_b64_e32 v[14:15], 2, v[14:15]
	s_delay_alu instid0(VALU_DEP_4)
	v_and_or_b32 v20, 0x8000, v20, v2
	s_wait_alu 0xf1ff
	v_cndmask_b32_e64 v12, v12, v10, s0
	v_mad_co_u64_u32 v[9:10], null, s4, v79, 0
	v_lshlrev_b32_e32 v18, v26, v21
	v_and_or_b32 v5, 0x1ff, v6, v5
	s_delay_alu instid0(VALU_DEP_4)
	v_and_or_b32 v22, 0x8000, v11, v12
	v_mul_f16_e32 v11, v83, v16
	v_and_b32_e32 v20, 0xffff, v20
	v_cmp_ne_u32_e64 s0, v18, v25
	v_mov_b32_e32 v2, v10
	v_add_nc_u32_e32 v18, 0xfffffc10, v24
	v_fma_f16 v16, v80, v19, -v11
	v_bfe_u32 v19, v6, 20, 11
	s_wait_alu 0xf1ff
	v_cndmask_b32_e64 v12, 0, 1, s0
	v_cmp_ne_u32_e64 s0, 0, v5
	v_mad_co_u64_u32 v[10:11], null, s5, v79, v[2:3]
	v_cvt_f32_f16_e32 v11, v16
	v_lshrrev_b32_e32 v16, 8, v6
	s_wait_alu 0xf1ff
	v_cndmask_b32_e64 v5, 0, 1, s0
	v_or_b32_e32 v2, v21, v12
	v_mul_f64_e32 v[7:8], s[8:9], v[7:8]
	v_cvt_f64_f32_e32 v[11:12], v11
	v_lshl_or_b32 v21, v18, 12, v23
	v_and_or_b32 v5, 0xffe, v16, v5
	v_sub_nc_u32_e32 v16, 0x3f1, v19
	v_cmp_gt_i32_e64 s0, 1, v18
	v_lshl_or_b32 v20, v22, 16, v20
	v_lshlrev_b64_e32 v[9:10], 2, v[9:10]
	s_delay_alu instid0(VALU_DEP_4)
	v_med3_i32 v16, v16, 0, 13
	s_wait_alu 0xf1ff
	v_cndmask_b32_e64 v2, v21, v2, s0
	v_or_b32_e32 v21, 0x1000, v5
	v_add_co_u32 v25, s0, s10, v14
	s_wait_alu 0xf1ff
	v_add_co_ci_u32_e64 v26, s0, s11, v15, s0
	s_delay_alu instid0(VALU_DEP_3) | instskip(SKIP_2) | instid1(VALU_DEP_3)
	v_lshrrev_b32_e32 v24, v16, v21
	v_and_b32_e32 v22, 7, v2
	v_lshrrev_b32_e32 v2, 2, v2
	v_lshlrev_b32_e32 v14, v16, v24
	s_delay_alu instid0(VALU_DEP_3) | instskip(SKIP_4) | instid1(VALU_DEP_4)
	v_cmp_lt_i32_e64 s0, 5, v22
	v_cmp_eq_u32_e64 s1, 3, v22
	v_add_nc_u32_e32 v16, 0xfffffc10, v19
	v_lshrrev_b32_e32 v19, 16, v17
	v_cmp_ne_u32_e64 s2, v14, v21
	s_or_b32 s0, s1, s0
	s_delay_alu instid0(VALU_DEP_3)
	v_lshl_or_b32 v15, v16, 12, v5
	s_wait_alu 0xfffe
	v_add_co_ci_u32_e64 v2, s0, 0, v2, s0
	v_cndmask_b32_e64 v14, 0, 1, s2
	v_cmp_ne_u32_e64 s0, 0, v23
	v_cmp_eq_u32_e64 s2, 0x40f, v18
	s_delay_alu instid0(VALU_DEP_3) | instskip(SKIP_1) | instid1(VALU_DEP_3)
	v_or_b32_e32 v14, v24, v14
	s_wait_alu 0xf1ff
	v_cndmask_b32_e64 v21, 0, 1, s0
	v_cmp_gt_i32_e64 s0, 1, v16
	v_mul_f64_e32 v[11:12], s[8:9], v[11:12]
	v_and_or_b32 v7, 0x1ff, v8, v7
	v_lshrrev_b32_e32 v23, 8, v8
	v_bfe_u32 v24, v8, 20, 11
	s_wait_alu 0xf1ff
	v_cndmask_b32_e64 v22, v15, v14, s0
	v_mul_f16_e32 v14, v81, v19
	v_cmp_gt_i32_e64 s0, 31, v18
	v_lshl_or_b32 v21, v21, 9, 0x7c00
	v_lshrrev_b32_e32 v8, 16, v8
	v_and_b32_e32 v15, 7, v22
	v_fmac_f16_e32 v14, v78, v17
	s_wait_alu 0xf1ff
	v_cndmask_b32_e64 v2, 0x7c00, v2, s0
	v_cmp_ne_u32_e64 s0, 0, v7
	v_lshrrev_b32_e32 v18, 2, v22
	v_cmp_eq_u32_e64 s1, 3, v15
	v_cvt_f32_f16_e32 v14, v14
	v_cndmask_b32_e64 v2, v2, v21, s2
	s_wait_alu 0xf1ff
	v_cndmask_b32_e64 v7, 0, 1, s0
	v_cmp_lt_i32_e64 s0, 5, v15
	v_cvt_f64_f32_e32 v[14:15], v14
	v_and_or_b32 v2, 0x8000, v13, v2
	s_delay_alu instid0(VALU_DEP_4)
	v_and_or_b32 v7, 0xffe, v23, v7
	v_sub_nc_u32_e32 v23, 0x3f1, v24
	s_or_b32 s0, s1, s0
	v_mul_f16_e32 v13, v81, v17
	s_wait_alu 0xfffe
	v_add_co_ci_u32_e64 v18, s0, 0, v18, s0
	v_or_b32_e32 v21, 0x1000, v7
	v_med3_i32 v22, v23, 0, 13
	v_cmp_ne_u32_e64 s0, 0, v5
	v_and_b32_e32 v2, 0xffff, v2
	s_delay_alu instid0(VALU_DEP_3) | instskip(SKIP_1) | instid1(VALU_DEP_3)
	v_lshrrev_b32_e32 v23, v22, v21
	s_wait_alu 0xf1ff
	v_cndmask_b32_e64 v5, 0, 1, s0
	v_cmp_gt_i32_e64 s0, 31, v16
	s_delay_alu instid0(VALU_DEP_3) | instskip(NEXT) | instid1(VALU_DEP_3)
	v_lshlrev_b32_e32 v17, v22, v23
	v_lshl_or_b32 v5, v5, 9, 0x7c00
	s_wait_alu 0xf1ff
	s_delay_alu instid0(VALU_DEP_3)
	v_cndmask_b32_e64 v18, 0x7c00, v18, s0
	v_cmp_eq_u32_e64 s0, 0x40f, v16
	v_lshrrev_b32_e32 v22, 16, v6
	v_and_or_b32 v6, 0x1ff, v12, v11
	v_lshrrev_b32_e32 v16, 8, v12
	s_wait_alu 0xf1ff
	v_cndmask_b32_e64 v18, v18, v5, s0
	v_cmp_ne_u32_e64 s0, v17, v21
	v_fma_f16 v5, v78, v19, -v13
	v_add_nc_u32_e32 v19, 0xfffffc10, v24
	v_bfe_u32 v17, v12, 20, 11
	v_and_or_b32 v18, 0x8000, v22, v18
	s_wait_alu 0xf1ff
	v_cndmask_b32_e64 v11, 0, 1, s0
	v_cmp_ne_u32_e64 s0, 0, v6
	v_cvt_f32_f16_e32 v5, v5
	v_lshl_or_b32 v21, v19, 12, v7
	v_lshl_or_b32 v2, v18, 16, v2
	v_or_b32_e32 v11, v23, v11
	s_wait_alu 0xf1ff
	v_cndmask_b32_e64 v13, 0, 1, s0
	v_cvt_f64_f32_e32 v[5:6], v5
	v_cmp_gt_i32_e64 s0, 1, v19
	s_delay_alu instid0(VALU_DEP_3)
	v_and_or_b32 v23, 0xffe, v16, v13
	v_mul_f64_e32 v[13:14], s[8:9], v[14:15]
	v_sub_nc_u32_e32 v15, 0x3f1, v17
	v_add_nc_u32_e32 v16, 0xa00, v63
	s_wait_alu 0xf1ff
	v_cndmask_b32_e64 v11, v21, v11, s0
	v_or_b32_e32 v21, 0x1000, v23
	v_add_co_u32 v9, s0, v25, v9
	v_med3_i32 v24, v15, 0, 13
	ds_load_2addr_b32 v[15:16], v16 offset0:8 offset1:170
	s_wait_alu 0xf1ff
	v_add_co_ci_u32_e64 v10, s0, v26, v10, s0
	v_and_b32_e32 v25, 7, v11
	v_lshrrev_b32_e32 v22, v24, v21
	v_lshrrev_b32_e32 v11, 2, v11
	global_store_b32 v[9:10], v20, off
	v_cmp_lt_i32_e64 s0, 5, v25
	v_lshlrev_b32_e32 v20, v24, v22
	v_cmp_eq_u32_e64 s1, 3, v25
	s_delay_alu instid0(VALU_DEP_2) | instskip(NEXT) | instid1(VALU_DEP_2)
	v_cmp_ne_u32_e64 s2, v20, v21
	s_or_b32 s0, s1, s0
	v_add_nc_u32_e32 v20, 0xfffffc10, v17
	s_wait_alu 0xfffe
	v_add_co_ci_u32_e64 v11, s0, 0, v11, s0
	v_cndmask_b32_e64 v18, 0, 1, s2
	v_cmp_ne_u32_e64 s0, 0, v7
	s_wait_dscnt 0x0
	v_lshrrev_b32_e32 v21, 16, v15
	v_cmp_eq_u32_e64 s2, 0x40f, v19
	v_or_b32_e32 v17, v22, v18
	v_lshl_or_b32 v18, v20, 12, v23
	s_wait_alu 0xf1ff
	v_cndmask_b32_e64 v7, 0, 1, s0
	v_cmp_gt_i32_e64 s0, 1, v20
	v_mul_f64_e32 v[5:6], s[8:9], v[5:6]
	v_mul_f16_e32 v22, v77, v21
	v_and_or_b32 v13, 0x1ff, v14, v13
	v_lshl_or_b32 v7, v7, 9, 0x7c00
	s_wait_alu 0xf1ff
	v_cndmask_b32_e64 v24, v18, v17, s0
	v_cmp_gt_i32_e64 s0, 31, v19
	v_fmac_f16_e32 v22, v75, v15
	v_bfe_u32 v25, v14, 20, 11
	s_delay_alu instid0(VALU_DEP_4)
	v_and_b32_e32 v17, 7, v24
	s_wait_alu 0xf1ff
	v_cndmask_b32_e64 v11, 0x7c00, v11, s0
	v_cmp_ne_u32_e64 s0, 0, v13
	v_cvt_f32_f16_e32 v18, v22
	v_lshrrev_b32_e32 v22, 8, v14
	v_cmp_eq_u32_e64 s1, 3, v17
	v_cndmask_b32_e64 v7, v11, v7, s2
	s_wait_alu 0xf1ff
	v_cndmask_b32_e64 v13, 0, 1, s0
	v_cmp_lt_i32_e64 s0, 5, v17
	v_cvt_f64_f32_e32 v[17:18], v18
	v_lshrrev_b32_e32 v11, 2, v24
	v_and_or_b32 v26, 0x8000, v8, v7
	v_and_or_b32 v13, 0xffe, v22, v13
	v_sub_nc_u32_e32 v22, 0x3f1, v25
	s_or_b32 s0, s1, s0
	v_mul_f16_e32 v8, v77, v15
	s_wait_alu 0xfffe
	v_add_co_ci_u32_e64 v11, s0, 0, v11, s0
	v_or_b32_e32 v19, 0x1000, v13
	v_med3_i32 v22, v22, 0, 13
	v_cmp_ne_u32_e64 s0, 0, v23
	v_fma_f16 v8, v75, v21, -v8
	v_add_nc_u32_e32 v21, 0xfffffc10, v25
	v_lshrrev_b32_e32 v14, 16, v14
	v_lshrrev_b32_e32 v24, v22, v19
	s_wait_alu 0xf1ff
	v_cndmask_b32_e64 v23, 0, 1, s0
	v_cmp_gt_i32_e64 s0, 31, v20
	s_delay_alu instid0(VALU_DEP_3) | instskip(NEXT) | instid1(VALU_DEP_3)
	v_lshlrev_b32_e32 v7, v22, v24
	v_lshl_or_b32 v23, v23, 9, 0x7c00
	s_wait_alu 0xf1ff
	s_delay_alu instid0(VALU_DEP_3)
	v_cndmask_b32_e64 v11, 0x7c00, v11, s0
	v_cmp_eq_u32_e64 s0, 0x40f, v20
	v_and_or_b32 v5, 0x1ff, v6, v5
	v_lshrrev_b32_e32 v22, 16, v12
	v_bfe_u32 v15, v6, 20, 11
	v_cvt_f32_f16_e32 v12, v8
	s_wait_alu 0xf1ff
	v_cndmask_b32_e64 v20, v11, v23, s0
	v_cmp_ne_u32_e64 s0, v7, v19
	v_lshrrev_b32_e32 v11, 8, v6
	v_sub_nc_u32_e32 v23, 0x3f1, v15
	v_add_nc_u32_e32 v15, 0xfffffc10, v15
	v_and_or_b32 v20, 0x8000, v22, v20
	s_wait_alu 0xf1ff
	v_cndmask_b32_e64 v7, 0, 1, s0
	v_cmp_ne_u32_e64 s0, 0, v5
	v_and_b32_e32 v22, 0xffff, v26
	s_delay_alu instid0(VALU_DEP_3) | instskip(SKIP_1) | instid1(VALU_DEP_3)
	v_or_b32_e32 v19, v24, v7
	s_wait_alu 0xf1ff
	v_cndmask_b32_e64 v5, 0, 1, s0
	v_mul_f64_e32 v[7:8], s[8:9], v[17:18]
	v_lshl_or_b32 v17, v21, 12, v13
	v_cmp_gt_i32_e64 s0, 1, v21
	v_med3_i32 v18, v23, 0, 13
	v_and_or_b32 v5, 0xffe, v11, v5
	v_cvt_f64_f32_e32 v[11:12], v12
	v_lshl_or_b32 v22, v20, 16, v22
	s_wait_alu 0xf1ff
	v_cndmask_b32_e64 v19, v17, v19, s0
	v_add_co_u32 v9, s0, v9, s6
	v_or_b32_e32 v24, 0x1000, v5
	s_wait_alu 0xf1ff
	v_add_co_ci_u32_e64 v10, s0, s7, v10, s0
	v_and_b32_e32 v20, 7, v19
	v_add_co_u32 v17, s0, v9, s6
	v_lshrrev_b32_e32 v23, v18, v24
	v_lshrrev_b32_e32 v19, 2, v19
	s_delay_alu instid0(VALU_DEP_4) | instskip(NEXT) | instid1(VALU_DEP_3)
	v_cmp_eq_u32_e64 s1, 3, v20
	v_lshlrev_b32_e32 v25, v18, v23
	s_wait_alu 0xf1ff
	v_add_co_ci_u32_e64 v18, s0, s7, v10, s0
	v_cmp_lt_i32_e64 s0, 5, v20
	s_delay_alu instid0(VALU_DEP_3) | instskip(SKIP_1) | instid1(VALU_DEP_3)
	v_cmp_ne_u32_e64 s2, v25, v24
	v_lshrrev_b32_e32 v24, 16, v16
	s_or_b32 s0, s1, s0
	s_wait_alu 0xfffe
	v_add_co_ci_u32_e64 v19, s0, 0, v19, s0
	v_cndmask_b32_e64 v20, 0, 1, s2
	v_cmp_ne_u32_e64 s0, 0, v13
	v_mul_f16_e32 v25, v76, v24
	s_delay_alu instid0(VALU_DEP_3)
	v_or_b32_e32 v20, v23, v20
	v_lshl_or_b32 v23, v15, 12, v5
	s_wait_alu 0xf1ff
	v_cndmask_b32_e64 v13, 0, 1, s0
	v_cmp_gt_i32_e64 s0, 1, v15
	v_fmac_f16_e32 v25, v74, v16
	v_and_or_b32 v7, 0x1ff, v8, v7
	v_mul_f64_e32 v[11:12], s[8:9], v[11:12]
	v_lshl_or_b32 v13, v13, 9, 0x7c00
	s_wait_alu 0xf1ff
	v_cndmask_b32_e64 v23, v23, v20, s0
	v_cmp_gt_i32_e64 s0, 31, v21
	v_lshrrev_b32_e32 v27, 8, v8
	v_bfe_u32 v28, v8, 20, 11
	v_mul_f16_e32 v16, v76, v16
	s_wait_alu 0xf1ff
	v_cndmask_b32_e64 v26, 0x7c00, v19, s0
	v_cvt_f32_f16_e32 v19, v25
	v_cmp_ne_u32_e64 s0, 0, v7
	v_and_b32_e32 v25, 7, v23
	v_lshrrev_b32_e32 v23, 2, v23
	v_fma_f16 v16, v74, v24, -v16
	v_cvt_f64_f32_e32 v[19:20], v19
	s_wait_alu 0xf1ff
	v_cndmask_b32_e64 v7, 0, 1, s0
	v_cmp_eq_u32_e64 s0, 0x40f, v21
	v_cmp_eq_u32_e64 s1, 3, v25
	v_sub_nc_u32_e32 v21, 0x3f1, v28
	v_cvt_f32_f16_e32 v16, v16
	v_and_or_b32 v7, 0xffe, v27, v7
	s_wait_alu 0xf1ff
	v_cndmask_b32_e64 v13, v26, v13, s0
	v_cmp_lt_i32_e64 s0, 5, v25
	v_med3_i32 v21, v21, 0, 13
	v_or_b32_e32 v25, 0x1000, v7
	s_delay_alu instid0(VALU_DEP_4) | instskip(NEXT) | instid1(VALU_DEP_4)
	v_and_or_b32 v26, 0x8000, v14, v13
	s_or_b32 s0, s1, s0
	v_cvt_f64_f32_e32 v[13:14], v16
	s_wait_alu 0xfffe
	v_add_co_ci_u32_e64 v23, s0, 0, v23, s0
	v_cmp_ne_u32_e64 s0, 0, v5
	v_lshrrev_b32_e32 v24, v21, v25
	s_wait_alu 0xf1ff
	s_delay_alu instid0(VALU_DEP_2) | instskip(SKIP_1) | instid1(VALU_DEP_3)
	v_cndmask_b32_e64 v5, 0, 1, s0
	v_cmp_gt_i32_e64 s0, 31, v15
	v_lshlrev_b32_e32 v16, v21, v24
	v_bfe_u32 v29, v12, 20, 11
	s_delay_alu instid0(VALU_DEP_4) | instskip(SKIP_4) | instid1(VALU_DEP_1)
	v_lshl_or_b32 v5, v5, 9, 0x7c00
	s_wait_alu 0xf1ff
	v_cndmask_b32_e64 v23, 0x7c00, v23, s0
	v_cmp_eq_u32_e64 s0, 0x40f, v15
	s_wait_alu 0xf1ff
	v_cndmask_b32_e64 v21, v23, v5, s0
	v_and_or_b32 v5, 0x1ff, v12, v11
	v_cmp_ne_u32_e64 s0, v16, v25
	v_lshrrev_b32_e32 v11, 16, v6
	v_add_nc_u32_e32 v25, 0xfffffc10, v28
	v_lshrrev_b32_e32 v28, 8, v12
	ds_load_2addr_b32 v[15:16], v4 offset0:76 offset1:238
	s_wait_alu 0xf1ff
	v_cndmask_b32_e64 v23, 0, 1, s0
	v_cmp_ne_u32_e64 s0, 0, v5
	v_mul_f64_e32 v[5:6], s[8:9], v[19:20]
	v_and_or_b32 v4, 0x8000, v11, v21
	v_lshl_or_b32 v19, v25, 12, v7
	v_or_b32_e32 v11, v24, v23
	s_wait_alu 0xf1ff
	v_cndmask_b32_e64 v27, 0, 1, s0
	v_sub_nc_u32_e32 v21, 0x3f1, v29
	v_cmp_gt_i32_e64 s0, 1, v25
	v_and_b32_e32 v23, 0xffff, v26
	s_clause 0x1
	global_store_b32 v[9:10], v2, off
	global_store_b32 v[17:18], v22, off
	v_and_or_b32 v20, 0xffe, v28, v27
	v_med3_i32 v21, v21, 0, 13
	s_wait_alu 0xf1ff
	v_cndmask_b32_e64 v11, v19, v11, s0
	v_lshl_or_b32 v2, v4, 16, v23
	v_add_co_u32 v9, s0, v17, s6
	v_or_b32_e32 v19, 0x1000, v20
	s_delay_alu instid0(VALU_DEP_4)
	v_and_b32_e32 v4, 7, v11
	s_wait_alu 0xf1ff
	v_add_co_ci_u32_e64 v10, s0, s7, v18, s0
	v_mul_f64_e32 v[13:14], s[8:9], v[13:14]
	v_lshrrev_b32_e32 v22, v21, v19
	v_cmp_lt_i32_e64 s0, 5, v4
	v_cmp_eq_u32_e64 s1, 3, v4
	v_lshrrev_b32_e32 v11, 2, v11
	s_wait_dscnt 0x0
	v_lshrrev_b32_e32 v17, 16, v15
	v_lshlrev_b32_e32 v18, v21, v22
	global_store_b32 v[9:10], v2, off
	s_or_b32 s0, s1, s0
	v_lshrrev_b32_e32 v12, 16, v12
	s_wait_alu 0xfffe
	v_add_co_ci_u32_e64 v11, s0, 0, v11, s0
	v_cmp_ne_u32_e64 s2, v18, v19
	v_add_nc_u32_e32 v19, 0xfffffc10, v29
	v_cmp_ne_u32_e64 s0, 0, v7
	v_mul_f16_e32 v4, v73, v17
	s_wait_alu 0xf1ff
	v_cndmask_b32_e64 v18, 0, 1, s2
	v_lshl_or_b32 v21, v19, 12, v20
	v_cndmask_b32_e64 v7, 0, 1, s0
	v_cmp_gt_i32_e64 s0, 1, v19
	v_fmac_f16_e32 v4, v72, v15
	v_or_b32_e32 v18, v22, v18
	v_and_or_b32 v22, 0x1ff, v6, v5
	v_bfe_u32 v23, v6, 20, 11
	v_lshl_or_b32 v7, v7, 9, 0x7c00
	v_cvt_f32_f16_e32 v4, v4
	s_wait_alu 0xf1ff
	v_cndmask_b32_e64 v18, v21, v18, s0
	v_cmp_ne_u32_e64 s0, 0, v22
	v_lshrrev_b32_e32 v22, 8, v6
	v_mul_f16_e32 v15, v73, v15
	v_cvt_f64_f32_e32 v[4:5], v4
	v_and_b32_e32 v24, 7, v18
	s_wait_alu 0xf1ff
	v_cndmask_b32_e64 v21, 0, 1, s0
	v_cmp_gt_i32_e64 s0, 31, v25
	v_fma_f16 v15, v72, v17, -v15
	v_lshrrev_b32_e32 v6, 16, v6
	v_cmp_eq_u32_e64 s1, 3, v24
	v_and_or_b32 v21, 0xffe, v22, v21
	s_wait_alu 0xf1ff
	v_cndmask_b32_e64 v11, 0x7c00, v11, s0
	v_sub_nc_u32_e32 v22, 0x3f1, v23
	v_cmp_eq_u32_e64 s0, 0x40f, v25
	v_lshrrev_b32_e32 v25, 16, v8
	v_lshrrev_b32_e32 v8, 2, v18
	v_and_or_b32 v13, 0x1ff, v14, v13
	v_med3_i32 v22, v22, 0, 13
	s_wait_alu 0xf1ff
	v_cndmask_b32_e64 v11, v11, v7, s0
	v_or_b32_e32 v7, 0x1000, v21
	v_cmp_lt_i32_e64 s0, 5, v24
	v_lshrrev_b32_e32 v17, 8, v14
	s_delay_alu instid0(VALU_DEP_4) | instskip(NEXT) | instid1(VALU_DEP_4)
	v_and_or_b32 v2, 0x8000, v25, v11
	v_lshrrev_b32_e32 v18, v22, v7
	s_delay_alu instid0(VALU_DEP_4) | instskip(SKIP_2) | instid1(VALU_DEP_2)
	s_or_b32 s0, s1, s0
	s_wait_alu 0xfffe
	v_add_co_ci_u32_e64 v24, s0, 0, v8, s0
	v_lshlrev_b32_e32 v8, v22, v18
	v_cmp_ne_u32_e64 s0, 0, v13
	v_bfe_u32 v22, v14, 20, 11
	v_lshrrev_b32_e32 v14, 16, v14
	s_wait_alu 0xf1ff
	s_delay_alu instid0(VALU_DEP_3) | instskip(SKIP_3) | instid1(VALU_DEP_4)
	v_cndmask_b32_e64 v13, 0, 1, s0
	v_cmp_ne_u32_e64 s0, v8, v7
	v_cvt_f32_f16_e32 v7, v15
	v_add_nc_u32_e32 v15, 0xfffffc10, v23
	v_and_or_b32 v13, 0xffe, v17, v13
	s_wait_alu 0xf1ff
	v_cndmask_b32_e64 v26, 0, 1, s0
	v_cmp_ne_u32_e64 s0, 0, v20
	v_sub_nc_u32_e32 v17, 0x3f1, v22
	v_mul_f64_e32 v[4:5], s[8:9], v[4:5]
	v_cvt_f64_f32_e32 v[7:8], v7
	v_or_b32_e32 v18, v18, v26
	s_wait_alu 0xf1ff
	v_cndmask_b32_e64 v20, 0, 1, s0
	v_cmp_gt_i32_e64 s0, 31, v19
	v_lshl_or_b32 v23, v15, 12, v21
	v_or_b32_e32 v26, 0x1000, v13
	v_med3_i32 v17, v17, 0, 13
	v_lshl_or_b32 v20, v20, 9, 0x7c00
	s_wait_alu 0xf1ff
	v_cndmask_b32_e64 v24, 0x7c00, v24, s0
	v_cmp_gt_i32_e64 s0, 1, v15
	s_wait_alu 0xf1ff
	s_delay_alu instid0(VALU_DEP_1) | instskip(SKIP_2) | instid1(VALU_DEP_2)
	v_cndmask_b32_e64 v18, v23, v18, s0
	v_lshrrev_b32_e32 v23, v17, v26
	v_cmp_eq_u32_e64 s0, 0x40f, v19
	v_lshlrev_b32_e32 v17, v17, v23
	s_wait_alu 0xf1ff
	s_delay_alu instid0(VALU_DEP_2) | instskip(SKIP_1) | instid1(VALU_DEP_3)
	v_cndmask_b32_e64 v19, v24, v20, s0
	v_and_b32_e32 v20, 7, v18
	v_cmp_ne_u32_e64 s1, v17, v26
	v_add_nc_u32_e32 v17, 0xfffffc10, v22
	s_delay_alu instid0(VALU_DEP_3)
	v_cmp_lt_i32_e64 s0, 5, v20
	v_and_or_b32 v19, 0x8000, v12, v19
	v_lshrrev_b32_e32 v22, 16, v16
	s_wait_alu 0xf1ff
	v_cndmask_b32_e64 v11, 0, 1, s1
	v_cmp_eq_u32_e64 s1, 3, v20
	v_and_b32_e32 v20, 0xffff, v2
	v_lshrrev_b32_e32 v2, 2, v18
	v_lshl_or_b32 v12, v17, 12, v13
	v_or_b32_e32 v11, v23, v11
	s_or_b32 s0, s1, s0
	v_and_or_b32 v4, 0x1ff, v5, v4
	s_wait_alu 0xfffe
	v_add_co_ci_u32_e64 v2, s0, 0, v2, s0
	v_cmp_ne_u32_e64 s0, 0, v21
	v_mul_f64_e32 v[7:8], s[8:9], v[7:8]
	v_lshrrev_b32_e32 v23, 8, v5
	v_bfe_u32 v24, v5, 20, 11
	v_lshl_or_b32 v19, v19, 16, v20
	s_wait_alu 0xf1ff
	v_cndmask_b32_e64 v18, 0, 1, s0
	v_cmp_gt_i32_e64 s0, 1, v17
	v_lshrrev_b32_e32 v5, 16, v5
	s_wait_alu 0xf1ff
	s_delay_alu instid0(VALU_DEP_2) | instskip(SKIP_3) | instid1(VALU_DEP_4)
	v_cndmask_b32_e64 v21, v12, v11, s0
	v_cmp_gt_i32_e64 s0, 31, v15
	v_mul_f16_e32 v11, v71, v22
	v_lshl_or_b32 v12, v18, 9, 0x7c00
	v_and_b32_e32 v18, 7, v21
	s_wait_alu 0xf1ff
	v_cndmask_b32_e64 v2, 0x7c00, v2, s0
	v_cmp_ne_u32_e64 s0, 0, v4
	v_fmac_f16_e32 v11, v70, v16
	v_cmp_eq_u32_e64 s1, 3, v18
	s_wait_alu 0xf1ff
	s_delay_alu instid0(VALU_DEP_3) | instskip(SKIP_3) | instid1(VALU_DEP_4)
	v_cndmask_b32_e64 v4, 0, 1, s0
	v_cmp_eq_u32_e64 s0, 0x40f, v15
	v_cvt_f32_f16_e32 v11, v11
	v_sub_nc_u32_e32 v15, 0x3f1, v24
	v_and_or_b32 v4, 0xffe, v23, v4
	s_wait_alu 0xf1ff
	v_cndmask_b32_e64 v2, v2, v12, s0
	v_cmp_lt_i32_e64 s0, 5, v18
	v_cvt_f64_f32_e32 v[11:12], v11
	v_lshrrev_b32_e32 v18, 2, v21
	v_or_b32_e32 v21, 0x1000, v4
	v_med3_i32 v15, v15, 0, 13
	s_or_b32 s0, s1, s0
	v_and_or_b32 v25, 0x8000, v6, v2
	s_wait_alu 0xfffe
	v_add_co_ci_u32_e64 v18, s0, 0, v18, s0
	v_cmp_ne_u32_e64 s0, 0, v13
	v_lshrrev_b32_e32 v23, v15, v21
	v_mul_f16_e32 v2, v71, v16
	v_and_or_b32 v7, 0x1ff, v8, v7
	s_wait_alu 0xf1ff
	v_cndmask_b32_e64 v13, 0, 1, s0
	v_cmp_gt_i32_e64 s0, 31, v17
	v_lshlrev_b32_e32 v6, v15, v23
	v_fma_f16 v2, v70, v22, -v2
	s_delay_alu instid0(VALU_DEP_4)
	v_lshl_or_b32 v13, v13, 9, 0x7c00
	s_wait_alu 0xf1ff
	v_cndmask_b32_e64 v18, 0x7c00, v18, s0
	v_cmp_eq_u32_e64 s0, 0x40f, v17
	v_cvt_f32_f16_e32 v2, v2
	v_add_nc_u32_e32 v17, 0xfffffc10, v24
	s_wait_alu 0xf1ff
	s_delay_alu instid0(VALU_DEP_3)
	v_cndmask_b32_e64 v13, v18, v13, s0
	v_cmp_ne_u32_e64 s0, v6, v21
	v_lshrrev_b32_e32 v18, 8, v8
	v_bfe_u32 v21, v8, 20, 11
	v_lshl_or_b32 v22, v17, 12, v4
	v_and_or_b32 v13, 0x8000, v14, v13
	s_wait_alu 0xf1ff
	v_cndmask_b32_e64 v15, 0, 1, s0
	v_cmp_ne_u32_e64 s0, 0, v7
	v_cvt_f64_f32_e32 v[6:7], v2
	ds_load_2addr_b32 v[2:3], v3 offset0:16 offset1:178
	v_and_b32_e32 v14, 0xffff, v25
	v_or_b32_e32 v15, v23, v15
	s_wait_alu 0xf1ff
	v_cndmask_b32_e64 v16, 0, 1, s0
	v_cmp_gt_i32_e64 s0, 1, v17
	v_mul_f64_e32 v[11:12], s[8:9], v[11:12]
	v_lshl_or_b32 v24, v13, 16, v14
	v_lshrrev_b32_e32 v8, 16, v8
	v_and_or_b32 v18, 0xffe, v18, v16
	v_sub_nc_u32_e32 v16, 0x3f1, v21
	s_wait_alu 0xf1ff
	v_cndmask_b32_e64 v15, v22, v15, s0
	v_add_co_u32 v9, s0, v9, s6
	v_or_b32_e32 v22, 0x1000, v18
	v_med3_i32 v16, v16, 0, 13
	s_delay_alu instid0(VALU_DEP_4)
	v_and_b32_e32 v20, 7, v15
	s_wait_alu 0xf1ff
	v_add_co_ci_u32_e64 v10, s0, s7, v10, s0
	v_lshrrev_b32_e32 v14, 2, v15
	v_lshrrev_b32_e32 v23, v16, v22
	v_cmp_lt_i32_e64 s0, 5, v20
	v_cmp_eq_u32_e64 s1, 3, v20
	s_wait_dscnt 0x0
	v_lshrrev_b32_e32 v20, 16, v2
	v_add_nc_u32_e32 v21, 0xfffffc10, v21
	v_lshlrev_b32_e32 v13, v16, v23
	s_or_b32 s0, s1, s0
	s_delay_alu instid0(VALU_DEP_3)
	v_mul_f16_e32 v15, v69, v20
	s_wait_alu 0xfffe
	v_add_co_ci_u32_e64 v14, s0, 0, v14, s0
	v_cmp_ne_u32_e64 s2, v13, v22
	v_cmp_ne_u32_e64 s0, 0, v4
	v_lshl_or_b32 v16, v21, 12, v18
	v_fmac_f16_e32 v15, v68, v2
	v_mul_f16_e32 v2, v69, v2
	s_wait_alu 0xf1ff
	v_cndmask_b32_e64 v13, 0, 1, s2
	v_cndmask_b32_e64 v4, 0, 1, s0
	v_mul_f64_e32 v[6:7], s[8:9], v[6:7]
	v_cmp_gt_i32_e64 s0, 1, v21
	v_fma_f16 v2, v68, v20, -v2
	v_or_b32_e32 v13, v23, v13
	v_lshl_or_b32 v4, v4, 9, 0x7c00
	v_and_or_b32 v11, 0x1ff, v12, v11
	s_delay_alu instid0(VALU_DEP_4)
	v_cvt_f32_f16_e32 v2, v2
	s_wait_alu 0xf1ff
	v_cndmask_b32_e64 v22, v16, v13, s0
	v_cvt_f32_f16_e32 v13, v15
	v_cmp_gt_i32_e64 s0, 31, v17
	v_cmp_ne_u32_e64 s1, 0, v11
	s_delay_alu instid0(VALU_DEP_4)
	v_and_b32_e32 v25, 7, v22
	v_lshrrev_b32_e32 v22, 2, v22
	s_wait_alu 0xf1ff
	v_cndmask_b32_e64 v23, 0x7c00, v14, s0
	v_cvt_f64_f32_e32 v[13:14], v13
	v_add_co_u32 v15, s0, v9, s6
	s_wait_alu 0xf1ff
	v_add_co_ci_u32_e64 v16, s0, s7, v10, s0
	v_cmp_eq_u32_e64 s0, 0x40f, v17
	v_cndmask_b32_e64 v11, 0, 1, s1
	v_cmp_eq_u32_e64 s1, 3, v25
	v_lshrrev_b32_e32 v17, 8, v12
	global_store_b32 v[9:10], v19, off
	global_store_b32 v[15:16], v24, off
	s_wait_alu 0xf1ff
	v_cndmask_b32_e64 v4, v23, v4, s0
	v_cmp_lt_i32_e64 s0, 5, v25
	v_bfe_u32 v23, v12, 20, 11
	v_and_or_b32 v17, 0xffe, v17, v11
	v_lshrrev_b32_e32 v12, 16, v12
	v_and_or_b32 v26, 0x8000, v5, v4
	s_or_b32 s0, s1, s0
	v_sub_nc_u32_e32 v11, 0x3f1, v23
	s_wait_alu 0xfffe
	v_add_co_ci_u32_e64 v22, s0, 0, v22, s0
	v_cmp_ne_u32_e64 s0, 0, v18
	v_or_b32_e32 v25, 0x1000, v17
	v_med3_i32 v11, v11, 0, 13
	v_and_or_b32 v4, 0x1ff, v7, v6
	v_add_nc_u32_e32 v20, 0xfffffc10, v23
	s_wait_alu 0xf1ff
	v_cndmask_b32_e64 v18, 0, 1, s0
	v_cmp_gt_i32_e64 s0, 31, v21
	v_lshrrev_b32_e32 v27, v11, v25
	v_cmp_eq_u32_e64 s2, 0x40f, v20
	s_delay_alu instid0(VALU_DEP_4)
	v_lshl_or_b32 v18, v18, 9, 0x7c00
	s_wait_alu 0xf1ff
	v_cndmask_b32_e64 v22, 0x7c00, v22, s0
	v_cmp_eq_u32_e64 s0, 0x40f, v21
	v_lshlrev_b32_e32 v11, v11, v27
	v_lshrrev_b32_e32 v21, 8, v7
	s_wait_alu 0xf1ff
	s_delay_alu instid0(VALU_DEP_3)
	v_cndmask_b32_e64 v6, v22, v18, s0
	v_cmp_ne_u32_e64 s0, 0, v4
	v_bfe_u32 v22, v7, 20, 11
	v_mul_f64_e32 v[4:5], s[8:9], v[13:14]
	v_lshrrev_b32_e32 v7, 16, v7
	s_wait_alu 0xf1ff
	v_cndmask_b32_e64 v18, 0, 1, s0
	v_cmp_ne_u32_e64 s0, v11, v25
	v_sub_nc_u32_e32 v13, 0x3f1, v22
	s_delay_alu instid0(VALU_DEP_3) | instskip(SKIP_1) | instid1(VALU_DEP_3)
	v_and_or_b32 v18, 0xffe, v21, v18
	s_wait_alu 0xf1ff
	v_cndmask_b32_e64 v11, 0, 1, s0
	v_lshl_or_b32 v21, v20, 12, v17
	v_med3_i32 v25, v13, 0, 13
	v_cmp_gt_i32_e64 s0, 1, v20
	v_or_b32_e32 v23, 0x1000, v18
	v_or_b32_e32 v11, v27, v11
	v_cvt_f64_f32_e32 v[13:14], v2
	v_and_or_b32 v2, 0x8000, v8, v6
	v_and_b32_e32 v6, 0xffff, v26
	s_wait_alu 0xf1ff
	v_cndmask_b32_e64 v11, v21, v11, s0
	v_lshrrev_b32_e32 v21, v25, v23
	v_add_co_u32 v8, s0, v15, s6
	v_lshl_or_b32 v19, v2, 16, v6
	s_delay_alu instid0(VALU_DEP_4) | instskip(NEXT) | instid1(VALU_DEP_4)
	v_and_b32_e32 v2, 7, v11
	v_lshlrev_b32_e32 v6, v25, v21
	s_wait_alu 0xf1ff
	v_add_co_ci_u32_e64 v9, s0, s7, v16, s0
	v_lshrrev_b32_e32 v15, 16, v3
	v_cmp_lt_i32_e64 s0, 5, v2
	v_cmp_ne_u32_e64 s1, v6, v23
	v_add_nc_u32_e32 v16, 0xfffffc10, v22
	s_delay_alu instid0(VALU_DEP_4) | instskip(SKIP_1) | instid1(VALU_DEP_3)
	v_mul_f16_e32 v10, v67, v15
	s_wait_alu 0xf1ff
	v_cndmask_b32_e64 v6, 0, 1, s1
	v_cmp_eq_u32_e64 s1, 3, v2
	v_lshrrev_b32_e32 v2, 2, v11
	v_lshl_or_b32 v11, v16, 12, v18
	v_and_or_b32 v4, 0x1ff, v5, v4
	v_or_b32_e32 v6, v21, v6
	s_or_b32 s0, s1, s0
	v_fmac_f16_e32 v10, v65, v3
	s_wait_alu 0xfffe
	v_add_co_ci_u32_e64 v2, s0, 0, v2, s0
	v_cmp_gt_i32_e64 s0, 1, v16
	v_lshrrev_b32_e32 v21, 8, v5
	v_cvt_f32_f16_e32 v10, v10
	v_bfe_u32 v22, v5, 20, 11
	s_wait_alu 0xf1ff
	v_cndmask_b32_e64 v6, v11, v6, s0
	v_cmp_ne_u32_e64 s0, 0, v4
	v_cvt_f64_f32_e32 v[10:11], v10
	v_mul_f64_e32 v[13:14], s[8:9], v[13:14]
	s_delay_alu instid0(VALU_DEP_4)
	v_and_b32_e32 v23, 7, v6
	s_wait_alu 0xf1ff
	v_cndmask_b32_e64 v4, 0, 1, s0
	v_cmp_ne_u32_e64 s0, 0, v17
	v_lshrrev_b32_e32 v6, 2, v6
	v_cmp_eq_u32_e64 s1, 3, v23
	s_delay_alu instid0(VALU_DEP_4)
	v_and_or_b32 v4, 0xffe, v21, v4
	s_wait_alu 0xf1ff
	v_cndmask_b32_e64 v17, 0, 1, s0
	v_cmp_gt_i32_e64 s0, 31, v20
	v_sub_nc_u32_e32 v21, 0x3f1, v22
	v_or_b32_e32 v24, 0x1000, v4
	s_delay_alu instid0(VALU_DEP_4) | instskip(SKIP_4) | instid1(VALU_DEP_3)
	v_lshl_or_b32 v17, v17, 9, 0x7c00
	s_wait_alu 0xf1ff
	v_cndmask_b32_e64 v2, 0x7c00, v2, s0
	v_cmp_lt_i32_e64 s0, 5, v23
	v_med3_i32 v21, v21, 0, 13
	v_cndmask_b32_e64 v2, v2, v17, s2
	s_delay_alu instid0(VALU_DEP_3) | instskip(NEXT) | instid1(VALU_DEP_2)
	s_or_b32 s0, s1, s0
	v_lshrrev_b32_e32 v17, v21, v24
	s_wait_alu 0xfffe
	v_add_co_ci_u32_e64 v6, s0, 0, v6, s0
	v_cmp_ne_u32_e64 s0, 0, v18
	v_and_or_b32 v12, 0x8000, v12, v2
	v_lshlrev_b32_e32 v20, v21, v17
	s_wait_alu 0xf1ff
	s_delay_alu instid0(VALU_DEP_3) | instskip(SKIP_2) | instid1(VALU_DEP_3)
	v_cndmask_b32_e64 v18, 0, 1, s0
	v_cmp_gt_i32_e64 s0, 31, v16
	v_and_b32_e32 v12, 0xffff, v12
	v_lshl_or_b32 v18, v18, 9, 0x7c00
	s_wait_alu 0xf1ff
	s_delay_alu instid0(VALU_DEP_3) | instskip(SKIP_3) | instid1(VALU_DEP_2)
	v_cndmask_b32_e64 v6, 0x7c00, v6, s0
	v_cmp_ne_u32_e64 s0, v20, v24
	v_mul_f16_e32 v20, v67, v3
	s_wait_alu 0xf1ff
	v_cndmask_b32_e64 v2, 0, 1, s0
	v_cmp_eq_u32_e64 s0, 0x40f, v16
	v_add_nc_u32_e32 v16, 0xfffffc10, v22
	s_delay_alu instid0(VALU_DEP_3) | instskip(SKIP_1) | instid1(VALU_DEP_3)
	v_or_b32_e32 v17, v17, v2
	s_wait_alu 0xf1ff
	v_cndmask_b32_e64 v6, v6, v18, s0
	ds_load_b32 v18, v63 offset:6480
	v_mul_f64_e32 v[2:3], s[8:9], v[10:11]
	v_lshl_or_b32 v10, v16, 12, v4
	v_and_or_b32 v11, 0x1ff, v14, v13
	v_fma_f16 v13, v65, v15, -v20
	v_cmp_gt_i32_e64 s0, 1, v16
	v_lshrrev_b32_e32 v15, 8, v14
	v_and_or_b32 v20, 0x8000, v7, v6
	s_delay_alu instid0(VALU_DEP_4)
	v_cvt_f32_f16_e32 v13, v13
	s_wait_alu 0xf1ff
	v_cndmask_b32_e64 v10, v10, v17, s0
	v_cmp_ne_u32_e64 s0, 0, v11
	v_bfe_u32 v17, v14, 20, 11
	v_lshl_or_b32 v20, v20, 16, v12
	v_cvt_f64_f32_e32 v[6:7], v13
	v_and_b32_e32 v21, 7, v10
	s_wait_alu 0xf1ff
	v_cndmask_b32_e64 v11, 0, 1, s0
	v_lshrrev_b32_e32 v10, 2, v10
	v_lshrrev_b32_e32 v14, 16, v14
	s_wait_dscnt 0x0
	v_lshrrev_b32_e32 v13, 16, v18
	v_and_or_b32 v15, 0xffe, v15, v11
	v_sub_nc_u32_e32 v11, 0x3f1, v17
	v_cmp_lt_i32_e64 s0, 5, v21
	v_cmp_eq_u32_e64 s1, 3, v21
	v_mul_f16_e32 v23, v66, v13
	v_or_b32_e32 v22, 0x1000, v15
	v_med3_i32 v11, v11, 0, 13
	v_add_nc_u32_e32 v17, 0xfffffc10, v17
	s_or_b32 s0, s1, s0
	v_fmac_f16_e32 v23, v64, v18
	s_wait_alu 0xfffe
	v_add_co_ci_u32_e64 v10, s0, 0, v10, s0
	v_lshrrev_b32_e32 v12, v11, v22
	v_cmp_ne_u32_e64 s0, 0, v4
	v_mul_f16_e32 v18, v66, v18
	s_delay_alu instid0(VALU_DEP_3) | instskip(SKIP_1) | instid1(VALU_DEP_3)
	v_lshlrev_b32_e32 v21, v11, v12
	s_wait_alu 0xf1ff
	v_cndmask_b32_e64 v4, 0, 1, s0
	v_cvt_f32_f16_e32 v11, v23
	v_cmp_gt_i32_e64 s0, 31, v16
	v_and_or_b32 v2, 0x1ff, v3, v2
	v_fma_f16 v13, v64, v13, -v18
	v_lshl_or_b32 v18, v17, 12, v15
	v_lshl_or_b32 v4, v4, 9, 0x7c00
	s_wait_alu 0xf1ff
	v_cndmask_b32_e64 v23, 0x7c00, v10, s0
	v_cvt_f64_f32_e32 v[10:11], v11
	v_cmp_ne_u32_e64 s0, v21, v22
	v_lshrrev_b32_e32 v22, 8, v3
	v_cvt_f32_f16_e32 v13, v13
	v_mul_f64_e32 v[6:7], s[8:9], v[6:7]
	s_wait_alu 0xf1ff
	v_cndmask_b32_e64 v21, 0, 1, s0
	v_cmp_ne_u32_e64 s0, 0, v2
	s_delay_alu instid0(VALU_DEP_2) | instskip(SKIP_1) | instid1(VALU_DEP_2)
	v_or_b32_e32 v12, v12, v21
	s_wait_alu 0xf1ff
	v_cndmask_b32_e64 v2, 0, 1, s0
	v_bfe_u32 v21, v3, 20, 11
	v_cmp_gt_i32_e64 s0, 1, v17
	v_lshrrev_b32_e32 v3, 16, v3
	s_delay_alu instid0(VALU_DEP_4) | instskip(NEXT) | instid1(VALU_DEP_4)
	v_and_or_b32 v2, 0xffe, v22, v2
	v_sub_nc_u32_e32 v22, 0x3f1, v21
	s_wait_alu 0xf1ff
	v_cndmask_b32_e64 v18, v18, v12, s0
	v_cmp_eq_u32_e64 s0, 0x40f, v16
	v_cvt_f64_f32_e32 v[12:13], v13
	v_or_b32_e32 v24, 0x1000, v2
	v_med3_i32 v22, v22, 0, 13
	v_and_b32_e32 v25, 7, v18
	s_wait_alu 0xf1ff
	v_cndmask_b32_e64 v16, v23, v4, s0
	v_add_co_u32 v4, s0, v8, s6
	v_lshrrev_b32_e32 v26, v22, v24
	v_lshrrev_b32_e32 v23, 16, v5
	s_wait_alu 0xf1ff
	v_add_co_ci_u32_e64 v5, s0, s7, v9, s0
	v_cmp_lt_i32_e64 s0, 5, v25
	v_cmp_eq_u32_e64 s1, 3, v25
	v_lshrrev_b32_e32 v18, 2, v18
	v_lshlrev_b32_e32 v22, v22, v26
	v_add_nc_u32_e32 v21, 0xfffffc10, v21
	v_and_or_b32 v16, 0x8000, v23, v16
	s_or_b32 s0, s1, s0
	v_mul_f64_e32 v[10:11], s[8:9], v[10:11]
	s_wait_alu 0xfffe
	v_add_co_ci_u32_e64 v18, s0, 0, v18, s0
	v_cmp_ne_u32_e64 s2, v22, v24
	v_cmp_ne_u32_e64 s0, 0, v15
	v_lshl_or_b32 v23, v21, 12, v2
	v_and_or_b32 v6, 0x1ff, v7, v6
	s_wait_alu 0xf1ff
	v_cndmask_b32_e64 v22, 0, 1, s2
	v_cndmask_b32_e64 v15, 0, 1, s0
	v_cmp_gt_i32_e64 s0, 31, v17
	s_delay_alu instid0(VALU_DEP_3) | instskip(NEXT) | instid1(VALU_DEP_3)
	v_or_b32_e32 v22, v26, v22
	v_lshl_or_b32 v15, v15, 9, 0x7c00
	s_wait_alu 0xf1ff
	s_delay_alu instid0(VALU_DEP_3) | instskip(SKIP_3) | instid1(VALU_DEP_2)
	v_cndmask_b32_e64 v18, 0x7c00, v18, s0
	v_cmp_gt_i32_e64 s0, 1, v21
	v_mul_f64_e32 v[12:13], s[8:9], v[12:13]
	s_wait_alu 0xf1ff
	v_cndmask_b32_e64 v22, v23, v22, s0
	v_cmp_eq_u32_e64 s0, 0x40f, v17
	v_bfe_u32 v23, v7, 20, 11
	s_delay_alu instid0(VALU_DEP_3) | instskip(SKIP_1) | instid1(VALU_DEP_3)
	v_and_b32_e32 v17, 7, v22
	s_wait_alu 0xf1ff
	v_cndmask_b32_e64 v15, v18, v15, s0
	v_cmp_ne_u32_e64 s0, 0, v6
	v_lshrrev_b32_e32 v18, 8, v7
	v_lshrrev_b32_e32 v7, 16, v7
	v_cmp_eq_u32_e64 s1, 3, v17
	v_and_or_b32 v14, 0x8000, v14, v15
	v_and_b32_e32 v15, 0xffff, v16
	s_wait_alu 0xf1ff
	v_cndmask_b32_e64 v6, 0, 1, s0
	v_cmp_lt_i32_e64 s0, 5, v17
	v_sub_nc_u32_e32 v16, 0x3f1, v23
	v_lshl_or_b32 v14, v14, 16, v15
	v_lshrrev_b32_e32 v15, 2, v22
	v_and_or_b32 v6, 0xffe, v18, v6
	s_or_b32 s0, s1, s0
	v_med3_i32 v16, v16, 0, 13
	v_and_or_b32 v10, 0x1ff, v11, v10
	s_wait_alu 0xfffe
	v_add_co_ci_u32_e64 v15, s0, 0, v15, s0
	v_or_b32_e32 v17, 0x1000, v6
	v_cmp_ne_u32_e64 s0, 0, v2
	v_lshrrev_b32_e32 v22, 8, v11
	v_bfe_u32 v24, v11, 20, 11
	v_lshrrev_b32_e32 v11, 16, v11
	v_lshrrev_b32_e32 v18, v16, v17
	s_wait_alu 0xf1ff
	v_cndmask_b32_e64 v2, 0, 1, s0
	v_cmp_gt_i32_e64 s0, 31, v21
	s_delay_alu instid0(VALU_DEP_3) | instskip(NEXT) | instid1(VALU_DEP_3)
	v_lshlrev_b32_e32 v16, v16, v18
	v_lshl_or_b32 v2, v2, 9, 0x7c00
	s_wait_alu 0xf1ff
	s_delay_alu instid0(VALU_DEP_3) | instskip(SKIP_3) | instid1(VALU_DEP_2)
	v_cndmask_b32_e64 v15, 0x7c00, v15, s0
	v_cmp_ne_u32_e64 s0, 0, v10
	v_and_or_b32 v12, 0x1ff, v13, v12
	s_wait_alu 0xf1ff
	v_cndmask_b32_e64 v10, 0, 1, s0
	v_cmp_ne_u32_e64 s0, v16, v17
	v_add_nc_u32_e32 v17, 0xfffffc10, v23
	v_bfe_u32 v23, v13, 20, 11
	s_delay_alu instid0(VALU_DEP_4) | instskip(SKIP_4) | instid1(VALU_DEP_2)
	v_and_or_b32 v10, 0xffe, v22, v10
	s_wait_alu 0xf1ff
	v_cndmask_b32_e64 v16, 0, 1, s0
	v_sub_nc_u32_e32 v22, 0x3f1, v24
	v_cmp_eq_u32_e64 s0, 0x40f, v21
	v_med3_i32 v21, v22, 0, 13
	s_wait_alu 0xf1ff
	s_delay_alu instid0(VALU_DEP_2)
	v_cndmask_b32_e64 v2, v15, v2, s0
	v_or_b32_e32 v15, v18, v16
	v_lshl_or_b32 v16, v17, 12, v6
	v_or_b32_e32 v18, 0x1000, v10
	v_cmp_gt_i32_e64 s0, 1, v17
	v_lshrrev_b32_e32 v22, 8, v13
	v_and_or_b32 v2, 0x8000, v3, v2
	s_wait_alu 0xf1ff
	s_delay_alu instid0(VALU_DEP_3) | instskip(SKIP_3) | instid1(VALU_DEP_4)
	v_cndmask_b32_e64 v15, v16, v15, s0
	v_lshrrev_b32_e32 v16, v21, v18
	v_cmp_ne_u32_e64 s0, 0, v12
	v_and_b32_e32 v2, 0xffff, v2
	v_and_b32_e32 v25, 7, v15
	s_delay_alu instid0(VALU_DEP_4)
	v_lshlrev_b32_e32 v21, v21, v16
	s_wait_alu 0xf1ff
	v_cndmask_b32_e64 v12, 0, 1, s0
	v_lshrrev_b32_e32 v15, 2, v15
	v_cmp_lt_i32_e64 s0, 5, v25
	v_cmp_ne_u32_e64 s1, v21, v18
	s_delay_alu instid0(VALU_DEP_4)
	v_and_or_b32 v3, 0xffe, v22, v12
	v_sub_nc_u32_e32 v12, 0x3f1, v23
	v_add_nc_u32_e32 v22, 0xfffffc10, v24
	s_wait_alu 0xf1ff
	v_cndmask_b32_e64 v18, 0, 1, s1
	v_cmp_eq_u32_e64 s1, 3, v25
	v_or_b32_e32 v21, 0x1000, v3
	v_med3_i32 v12, v12, 0, 13
	v_lshl_or_b32 v24, v22, 12, v10
	v_or_b32_e32 v16, v16, v18
	s_or_b32 s0, s1, s0
	s_wait_alu 0xfffe
	v_add_co_ci_u32_e64 v15, s0, 0, v15, s0
	v_lshrrev_b32_e32 v18, v12, v21
	v_cmp_gt_i32_e64 s0, 1, v22
	s_delay_alu instid0(VALU_DEP_2) | instskip(SKIP_1) | instid1(VALU_DEP_2)
	v_lshlrev_b32_e32 v12, v12, v18
	s_wait_alu 0xf1ff
	v_cndmask_b32_e64 v16, v24, v16, s0
	v_cmp_ne_u32_e64 s0, 0, v6
	s_wait_alu 0xf1ff
	s_delay_alu instid0(VALU_DEP_1) | instskip(SKIP_3) | instid1(VALU_DEP_4)
	v_cndmask_b32_e64 v6, 0, 1, s0
	v_cmp_ne_u32_e64 s0, v12, v21
	v_add_nc_u32_e32 v21, 0xfffffc10, v23
	v_and_b32_e32 v23, 7, v16
	v_lshl_or_b32 v6, v6, 9, 0x7c00
	s_wait_alu 0xf1ff
	v_cndmask_b32_e64 v12, 0, 1, s0
	v_cmp_gt_i32_e64 s0, 31, v17
	v_cmp_gt_i32_e64 s2, 1, v21
	v_cmp_eq_u32_e64 s1, 3, v23
	s_delay_alu instid0(VALU_DEP_4) | instskip(SKIP_4) | instid1(VALU_DEP_3)
	v_or_b32_e32 v12, v18, v12
	v_lshl_or_b32 v18, v21, 12, v3
	s_wait_alu 0xf1ff
	v_cndmask_b32_e64 v15, 0x7c00, v15, s0
	v_cmp_lt_i32_e64 s0, 5, v23
	v_cndmask_b32_e64 v12, v18, v12, s2
	v_cmp_eq_u32_e64 s2, 0x40f, v17
	s_delay_alu instid0(VALU_DEP_3) | instskip(NEXT) | instid1(VALU_DEP_1)
	s_or_b32 s0, s1, s0
	v_cndmask_b32_e64 v6, v15, v6, s2
	v_lshrrev_b32_e32 v15, 2, v16
	v_and_b32_e32 v16, 7, v12
	v_lshrrev_b32_e32 v12, 2, v12
	v_cmp_gt_i32_e64 s2, 31, v22
	s_wait_alu 0xfffe
	v_add_co_ci_u32_e64 v15, s0, 0, v15, s0
	v_cmp_ne_u32_e64 s0, 0, v10
	v_cmp_eq_u32_e64 s1, 3, v16
	s_wait_alu 0xf1ff
	s_delay_alu instid0(VALU_DEP_3) | instskip(NEXT) | instid1(VALU_DEP_3)
	v_cndmask_b32_e64 v15, 0x7c00, v15, s2
	v_cndmask_b32_e64 v10, 0, 1, s0
	v_cmp_lt_i32_e64 s0, 5, v16
	s_delay_alu instid0(VALU_DEP_2) | instskip(NEXT) | instid1(VALU_DEP_2)
	v_lshl_or_b32 v10, v10, 9, 0x7c00
	s_or_b32 s0, s1, s0
	s_wait_alu 0xfffe
	v_add_co_ci_u32_e64 v12, s0, 0, v12, s0
	v_cmp_ne_u32_e64 s0, 0, v3
	s_wait_alu 0xf1ff
	s_delay_alu instid0(VALU_DEP_1) | instskip(SKIP_1) | instid1(VALU_DEP_2)
	v_cndmask_b32_e64 v3, 0, 1, s0
	v_cmp_eq_u32_e64 s0, 0x40f, v22
	v_lshl_or_b32 v3, v3, 9, 0x7c00
	s_wait_alu 0xf1ff
	s_delay_alu instid0(VALU_DEP_2) | instskip(SKIP_2) | instid1(VALU_DEP_3)
	v_cndmask_b32_e64 v10, v15, v10, s0
	v_cmp_gt_i32_e64 s0, 31, v21
	v_and_or_b32 v15, 0x8000, v7, v6
	v_and_or_b32 v10, 0x8000, v11, v10
	s_wait_alu 0xf1ff
	s_delay_alu instid0(VALU_DEP_3) | instskip(SKIP_3) | instid1(VALU_DEP_2)
	v_cndmask_b32_e64 v12, 0x7c00, v12, s0
	v_cmp_eq_u32_e64 s0, 0x40f, v21
	v_lshrrev_b32_e32 v11, 16, v13
	s_wait_alu 0xf1ff
	v_cndmask_b32_e64 v3, v12, v3, s0
	v_add_co_u32 v6, s0, v4, s6
	s_wait_alu 0xf1ff
	v_add_co_ci_u32_e64 v7, s0, s7, v5, s0
	v_lshl_or_b32 v12, v15, 16, v2
	v_and_or_b32 v2, 0x8000, v11, v3
	v_and_b32_e32 v3, 0xffff, v10
	v_add_co_u32 v10, s0, v6, s6
	s_wait_alu 0xf1ff
	v_add_co_ci_u32_e64 v11, s0, s7, v7, s0
	s_delay_alu instid0(VALU_DEP_3) | instskip(NEXT) | instid1(VALU_DEP_3)
	v_lshl_or_b32 v13, v2, 16, v3
	v_add_co_u32 v2, s0, v10, s6
	s_wait_alu 0xf1ff
	s_delay_alu instid0(VALU_DEP_3)
	v_add_co_ci_u32_e64 v3, s0, s7, v11, s0
	global_store_b32 v[8:9], v19, off
	global_store_b32 v[4:5], v20, off
	;; [unrolled: 1-line block ×5, first 2 shown]
	s_and_b32 exec_lo, exec_lo, vcc_lo
	s_cbranch_execz .LBB0_15
; %bb.14:
	global_load_b32 v6, v[0:1], off offset:396
	v_add_nc_u32_e32 v4, 0x100, v63
	v_mad_co_u64_u32 v[2:3], null, 0xffffe83c, s4, v[2:3]
	ds_load_2addr_b32 v[4:5], v4 offset0:35 offset1:197
	s_wait_dscnt 0x0
	v_lshrrev_b32_e32 v7, 16, v4
	s_wait_loadcnt 0x0
	v_lshrrev_b32_e32 v8, 16, v6
	s_delay_alu instid0(VALU_DEP_1) | instskip(SKIP_1) | instid1(VALU_DEP_2)
	v_mul_f16_e32 v9, v7, v8
	v_mul_f16_e32 v8, v4, v8
	v_fmac_f16_e32 v9, v4, v6
	s_delay_alu instid0(VALU_DEP_2) | instskip(NEXT) | instid1(VALU_DEP_2)
	v_fma_f16 v4, v6, v7, -v8
	v_cvt_f32_f16_e32 v6, v9
	s_delay_alu instid0(VALU_DEP_2) | instskip(NEXT) | instid1(VALU_DEP_2)
	v_cvt_f32_f16_e32 v4, v4
	v_cvt_f64_f32_e32 v[6:7], v6
	s_delay_alu instid0(VALU_DEP_2) | instskip(NEXT) | instid1(VALU_DEP_2)
	v_cvt_f64_f32_e32 v[8:9], v4
	v_mul_f64_e32 v[6:7], s[8:9], v[6:7]
	s_delay_alu instid0(VALU_DEP_2) | instskip(NEXT) | instid1(VALU_DEP_2)
	v_mul_f64_e32 v[8:9], s[8:9], v[8:9]
	v_and_or_b32 v4, 0x1ff, v7, v6
	s_delay_alu instid0(VALU_DEP_2)
	v_and_or_b32 v8, 0x1ff, v9, v8
	v_lshrrev_b32_e32 v6, 8, v7
	v_bfe_u32 v10, v7, 20, 11
	v_lshrrev_b32_e32 v11, 8, v9
	v_cmp_ne_u32_e32 vcc_lo, 0, v4
	v_bfe_u32 v12, v9, 20, 11
	v_lshrrev_b32_e32 v7, 16, v7
	v_sub_nc_u32_e32 v13, 0x3f1, v10
	v_add_nc_u32_e32 v10, 0xfffffc10, v10
	s_wait_alu 0xfffd
	v_cndmask_b32_e64 v4, 0, 1, vcc_lo
	v_cmp_ne_u32_e32 vcc_lo, 0, v8
	v_lshrrev_b32_e32 v9, 16, v9
	s_delay_alu instid0(VALU_DEP_3) | instskip(SKIP_4) | instid1(VALU_DEP_3)
	v_and_or_b32 v4, 0xffe, v6, v4
	s_wait_alu 0xfffd
	v_cndmask_b32_e64 v8, 0, 1, vcc_lo
	v_sub_nc_u32_e32 v6, 0x3f1, v12
	v_add_nc_u32_e32 v12, 0xfffffc10, v12
	v_and_or_b32 v8, 0xffe, v11, v8
	v_med3_i32 v11, v13, 0, 13
	v_or_b32_e32 v13, 0x1000, v4
	v_med3_i32 v6, v6, 0, 13
	s_delay_alu instid0(VALU_DEP_4) | instskip(NEXT) | instid1(VALU_DEP_3)
	v_or_b32_e32 v14, 0x1000, v8
	v_lshrrev_b32_e32 v15, v11, v13
	s_delay_alu instid0(VALU_DEP_2) | instskip(NEXT) | instid1(VALU_DEP_2)
	v_lshrrev_b32_e32 v16, v6, v14
	v_lshlrev_b32_e32 v11, v11, v15
	s_delay_alu instid0(VALU_DEP_1) | instskip(SKIP_3) | instid1(VALU_DEP_1)
	v_cmp_ne_u32_e32 vcc_lo, v11, v13
	v_lshl_or_b32 v13, v10, 12, v4
	s_wait_alu 0xfffd
	v_cndmask_b32_e64 v11, 0, 1, vcc_lo
	v_or_b32_e32 v11, v15, v11
	v_lshlrev_b32_e32 v6, v6, v16
	s_delay_alu instid0(VALU_DEP_1) | instskip(SKIP_4) | instid1(VALU_DEP_2)
	v_cmp_ne_u32_e32 vcc_lo, v6, v14
	v_lshl_or_b32 v14, v12, 12, v8
	s_wait_alu 0xfffd
	v_cndmask_b32_e64 v6, 0, 1, vcc_lo
	v_cmp_gt_i32_e32 vcc_lo, 1, v10
	v_or_b32_e32 v6, v16, v6
	s_wait_alu 0xfffd
	v_cndmask_b32_e32 v11, v13, v11, vcc_lo
	v_cmp_gt_i32_e32 vcc_lo, 1, v12
	s_wait_alu 0xfffd
	s_delay_alu instid0(VALU_DEP_2) | instskip(SKIP_2) | instid1(VALU_DEP_3)
	v_dual_cndmask_b32 v6, v14, v6 :: v_dual_and_b32 v13, 7, v11
	v_cmp_ne_u32_e32 vcc_lo, 0, v4
	v_lshrrev_b32_e32 v11, 2, v11
	v_cmp_eq_u32_e64 s0, 3, v13
	s_wait_alu 0xfffd
	v_cndmask_b32_e64 v4, 0, 1, vcc_lo
	v_cmp_ne_u32_e32 vcc_lo, 0, v8
	s_delay_alu instid0(VALU_DEP_2) | instskip(SKIP_3) | instid1(VALU_DEP_2)
	v_lshl_or_b32 v4, v4, 9, 0x7c00
	s_wait_alu 0xfffd
	v_cndmask_b32_e64 v8, 0, 1, vcc_lo
	v_cmp_lt_i32_e32 vcc_lo, 5, v13
	v_lshl_or_b32 v8, v8, 9, 0x7c00
	s_or_b32 vcc_lo, s0, vcc_lo
	s_mul_i32 s0, s5, 0xffffe83c
	s_wait_alu 0xfffe
	v_add_co_ci_u32_e32 v11, vcc_lo, 0, v11, vcc_lo
	v_and_b32_e32 v14, 7, v6
	v_lshrrev_b32_e32 v6, 2, v6
	s_sub_co_i32 s0, s0, s4
	s_wait_alu 0xfffe
	v_add_nc_u32_e32 v3, s0, v3
	v_cmp_lt_i32_e64 s1, 5, v14
	v_cmp_eq_u32_e64 s2, 3, v14
	s_delay_alu instid0(VALU_DEP_1)
	s_or_b32 vcc_lo, s2, s1
	s_wait_alu 0xfffe
	v_add_co_ci_u32_e32 v6, vcc_lo, 0, v6, vcc_lo
	v_cmp_gt_i32_e32 vcc_lo, 31, v10
	s_wait_alu 0xfffd
	v_cndmask_b32_e32 v11, 0x7c00, v11, vcc_lo
	v_cmp_gt_i32_e32 vcc_lo, 31, v12
	s_wait_alu 0xfffd
	v_cndmask_b32_e32 v6, 0x7c00, v6, vcc_lo
	v_cmp_eq_u32_e32 vcc_lo, 0x40f, v10
	s_wait_alu 0xfffd
	v_cndmask_b32_e32 v4, v11, v4, vcc_lo
	v_cmp_eq_u32_e32 vcc_lo, 0x40f, v12
	s_delay_alu instid0(VALU_DEP_2) | instskip(SKIP_2) | instid1(VALU_DEP_2)
	v_and_or_b32 v4, 0x8000, v7, v4
	s_wait_alu 0xfffd
	v_cndmask_b32_e32 v6, v6, v8, vcc_lo
	v_and_b32_e32 v4, 0xffff, v4
	s_delay_alu instid0(VALU_DEP_2) | instskip(NEXT) | instid1(VALU_DEP_1)
	v_and_or_b32 v6, 0x8000, v9, v6
	v_lshl_or_b32 v4, v6, 16, v4
	v_lshrrev_b32_e32 v6, 16, v5
	global_store_b32 v[2:3], v4, off
	global_load_b32 v4, v[0:1], off offset:1044
	s_wait_loadcnt 0x0
	v_lshrrev_b32_e32 v7, 16, v4
	s_delay_alu instid0(VALU_DEP_1) | instskip(SKIP_1) | instid1(VALU_DEP_2)
	v_mul_f16_e32 v8, v6, v7
	v_mul_f16_e32 v7, v5, v7
	v_fmac_f16_e32 v8, v5, v4
	s_delay_alu instid0(VALU_DEP_2) | instskip(NEXT) | instid1(VALU_DEP_2)
	v_fma_f16 v4, v4, v6, -v7
	v_cvt_f32_f16_e32 v5, v8
	s_delay_alu instid0(VALU_DEP_2) | instskip(NEXT) | instid1(VALU_DEP_2)
	v_cvt_f32_f16_e32 v6, v4
	v_cvt_f64_f32_e32 v[4:5], v5
	s_delay_alu instid0(VALU_DEP_2) | instskip(NEXT) | instid1(VALU_DEP_2)
	v_cvt_f64_f32_e32 v[6:7], v6
	v_mul_f64_e32 v[4:5], s[8:9], v[4:5]
	s_delay_alu instid0(VALU_DEP_2) | instskip(NEXT) | instid1(VALU_DEP_2)
	v_mul_f64_e32 v[6:7], s[8:9], v[6:7]
	v_and_or_b32 v4, 0x1ff, v5, v4
	s_delay_alu instid0(VALU_DEP_2)
	v_and_or_b32 v6, 0x1ff, v7, v6
	v_lshrrev_b32_e32 v8, 8, v5
	v_bfe_u32 v9, v5, 20, 11
	v_lshrrev_b32_e32 v10, 8, v7
	v_cmp_ne_u32_e32 vcc_lo, 0, v4
	v_bfe_u32 v11, v7, 20, 11
	v_lshrrev_b32_e32 v5, 16, v5
	v_sub_nc_u32_e32 v12, 0x3f1, v9
	v_add_nc_u32_e32 v9, 0xfffffc10, v9
	s_wait_alu 0xfffd
	v_cndmask_b32_e64 v4, 0, 1, vcc_lo
	v_cmp_ne_u32_e32 vcc_lo, 0, v6
	v_lshrrev_b32_e32 v7, 16, v7
	s_delay_alu instid0(VALU_DEP_3) | instskip(SKIP_3) | instid1(VALU_DEP_2)
	v_and_or_b32 v4, 0xffe, v8, v4
	s_wait_alu 0xfffd
	v_cndmask_b32_e64 v6, 0, 1, vcc_lo
	v_sub_nc_u32_e32 v8, 0x3f1, v11
	v_and_or_b32 v6, 0xffe, v10, v6
	v_med3_i32 v10, v12, 0, 13
	v_or_b32_e32 v12, 0x1000, v4
	s_delay_alu instid0(VALU_DEP_4) | instskip(NEXT) | instid1(VALU_DEP_4)
	v_med3_i32 v8, v8, 0, 13
	v_or_b32_e32 v13, 0x1000, v6
	s_delay_alu instid0(VALU_DEP_3) | instskip(NEXT) | instid1(VALU_DEP_2)
	v_lshrrev_b32_e32 v14, v10, v12
	v_lshrrev_b32_e32 v15, v8, v13
	s_delay_alu instid0(VALU_DEP_2) | instskip(NEXT) | instid1(VALU_DEP_2)
	v_lshlrev_b32_e32 v10, v10, v14
	v_lshlrev_b32_e32 v8, v8, v15
	s_delay_alu instid0(VALU_DEP_2) | instskip(SKIP_4) | instid1(VALU_DEP_2)
	v_cmp_ne_u32_e32 vcc_lo, v10, v12
	v_lshl_or_b32 v12, v9, 12, v4
	s_wait_alu 0xfffd
	v_cndmask_b32_e64 v10, 0, 1, vcc_lo
	v_cmp_ne_u32_e32 vcc_lo, v8, v13
	v_or_b32_e32 v10, v14, v10
	s_wait_alu 0xfffd
	v_cndmask_b32_e64 v8, 0, 1, vcc_lo
	v_cmp_gt_i32_e32 vcc_lo, 1, v9
	v_add_nc_u32_e32 v11, 0xfffffc10, v11
	s_delay_alu instid0(VALU_DEP_3) | instskip(SKIP_2) | instid1(VALU_DEP_3)
	v_or_b32_e32 v8, v15, v8
	s_wait_alu 0xfffd
	v_cndmask_b32_e32 v10, v12, v10, vcc_lo
	v_lshl_or_b32 v13, v11, 12, v6
	v_cmp_gt_i32_e32 vcc_lo, 1, v11
	s_delay_alu instid0(VALU_DEP_3)
	v_and_b32_e32 v12, 7, v10
	v_lshrrev_b32_e32 v10, 2, v10
	s_wait_alu 0xfffd
	v_cndmask_b32_e32 v8, v13, v8, vcc_lo
	v_cmp_ne_u32_e32 vcc_lo, 0, v4
	v_cmp_eq_u32_e64 s0, 3, v12
	s_wait_alu 0xfffd
	v_cndmask_b32_e64 v4, 0, 1, vcc_lo
	v_cmp_ne_u32_e32 vcc_lo, 0, v6
	s_delay_alu instid0(VALU_DEP_2) | instskip(SKIP_3) | instid1(VALU_DEP_2)
	v_lshl_or_b32 v4, v4, 9, 0x7c00
	s_wait_alu 0xfffd
	v_cndmask_b32_e64 v6, 0, 1, vcc_lo
	v_cmp_lt_i32_e32 vcc_lo, 5, v12
	v_lshl_or_b32 v6, v6, 9, 0x7c00
	s_or_b32 vcc_lo, s0, vcc_lo
	s_wait_alu 0xfffe
	v_add_co_ci_u32_e32 v10, vcc_lo, 0, v10, vcc_lo
	v_and_b32_e32 v13, 7, v8
	v_lshrrev_b32_e32 v8, 2, v8
	s_delay_alu instid0(VALU_DEP_2) | instskip(SKIP_1) | instid1(VALU_DEP_1)
	v_cmp_lt_i32_e64 s1, 5, v13
	v_cmp_eq_u32_e64 s2, 3, v13
	s_or_b32 vcc_lo, s2, s1
	s_wait_alu 0xfffe
	v_add_co_ci_u32_e32 v8, vcc_lo, 0, v8, vcc_lo
	v_cmp_gt_i32_e32 vcc_lo, 31, v9
	s_wait_alu 0xfffd
	v_cndmask_b32_e32 v10, 0x7c00, v10, vcc_lo
	v_cmp_gt_i32_e32 vcc_lo, 31, v11
	s_wait_alu 0xfffd
	v_cndmask_b32_e32 v8, 0x7c00, v8, vcc_lo
	v_cmp_eq_u32_e32 vcc_lo, 0x40f, v9
	s_wait_alu 0xfffd
	v_cndmask_b32_e32 v4, v10, v4, vcc_lo
	v_cmp_eq_u32_e32 vcc_lo, 0x40f, v11
	s_delay_alu instid0(VALU_DEP_2)
	v_and_or_b32 v4, 0x8000, v5, v4
	s_wait_alu 0xfffd
	v_cndmask_b32_e32 v6, v8, v6, vcc_lo
	v_add_co_u32 v2, vcc_lo, v2, s6
	s_wait_alu 0xfffd
	v_add_co_ci_u32_e32 v3, vcc_lo, s7, v3, vcc_lo
	s_delay_alu instid0(VALU_DEP_3) | instskip(SKIP_1) | instid1(VALU_DEP_1)
	v_and_or_b32 v5, 0x8000, v7, v6
	v_and_b32_e32 v4, 0xffff, v4
	v_lshl_or_b32 v4, v5, 16, v4
	global_store_b32 v[2:3], v4, off
	global_load_b32 v6, v[0:1], off offset:1692
	v_add_nc_u32_e32 v4, 0x600, v63
	ds_load_2addr_b32 v[4:5], v4 offset0:39 offset1:201
	s_wait_dscnt 0x0
	v_lshrrev_b32_e32 v7, 16, v4
	s_wait_loadcnt 0x0
	v_lshrrev_b32_e32 v8, 16, v6
	s_delay_alu instid0(VALU_DEP_1) | instskip(SKIP_1) | instid1(VALU_DEP_2)
	v_mul_f16_e32 v9, v7, v8
	v_mul_f16_e32 v8, v4, v8
	v_fmac_f16_e32 v9, v4, v6
	s_delay_alu instid0(VALU_DEP_2) | instskip(NEXT) | instid1(VALU_DEP_2)
	v_fma_f16 v4, v6, v7, -v8
	v_cvt_f32_f16_e32 v6, v9
	s_delay_alu instid0(VALU_DEP_2) | instskip(NEXT) | instid1(VALU_DEP_2)
	v_cvt_f32_f16_e32 v4, v4
	v_cvt_f64_f32_e32 v[6:7], v6
	s_delay_alu instid0(VALU_DEP_2) | instskip(NEXT) | instid1(VALU_DEP_2)
	v_cvt_f64_f32_e32 v[8:9], v4
	v_mul_f64_e32 v[6:7], s[8:9], v[6:7]
	s_delay_alu instid0(VALU_DEP_2) | instskip(NEXT) | instid1(VALU_DEP_2)
	v_mul_f64_e32 v[8:9], s[8:9], v[8:9]
	v_and_or_b32 v4, 0x1ff, v7, v6
	s_delay_alu instid0(VALU_DEP_2)
	v_and_or_b32 v8, 0x1ff, v9, v8
	v_lshrrev_b32_e32 v6, 8, v7
	v_bfe_u32 v10, v7, 20, 11
	v_lshrrev_b32_e32 v11, 8, v9
	v_cmp_ne_u32_e32 vcc_lo, 0, v4
	v_bfe_u32 v12, v9, 20, 11
	v_lshrrev_b32_e32 v7, 16, v7
	v_sub_nc_u32_e32 v13, 0x3f1, v10
	v_add_nc_u32_e32 v10, 0xfffffc10, v10
	s_wait_alu 0xfffd
	v_cndmask_b32_e64 v4, 0, 1, vcc_lo
	v_cmp_ne_u32_e32 vcc_lo, 0, v8
	v_lshrrev_b32_e32 v9, 16, v9
	s_delay_alu instid0(VALU_DEP_3) | instskip(SKIP_4) | instid1(VALU_DEP_3)
	v_and_or_b32 v4, 0xffe, v6, v4
	s_wait_alu 0xfffd
	v_cndmask_b32_e64 v8, 0, 1, vcc_lo
	v_sub_nc_u32_e32 v6, 0x3f1, v12
	v_add_nc_u32_e32 v12, 0xfffffc10, v12
	v_and_or_b32 v8, 0xffe, v11, v8
	v_med3_i32 v11, v13, 0, 13
	v_or_b32_e32 v13, 0x1000, v4
	v_med3_i32 v6, v6, 0, 13
	s_delay_alu instid0(VALU_DEP_4) | instskip(NEXT) | instid1(VALU_DEP_3)
	v_or_b32_e32 v14, 0x1000, v8
	v_lshrrev_b32_e32 v15, v11, v13
	s_delay_alu instid0(VALU_DEP_2) | instskip(NEXT) | instid1(VALU_DEP_2)
	v_lshrrev_b32_e32 v16, v6, v14
	v_lshlrev_b32_e32 v11, v11, v15
	s_delay_alu instid0(VALU_DEP_2) | instskip(NEXT) | instid1(VALU_DEP_2)
	v_lshlrev_b32_e32 v6, v6, v16
	v_cmp_ne_u32_e32 vcc_lo, v11, v13
	v_lshl_or_b32 v13, v10, 12, v4
	s_wait_alu 0xfffd
	v_cndmask_b32_e64 v11, 0, 1, vcc_lo
	v_cmp_ne_u32_e32 vcc_lo, v6, v14
	v_lshl_or_b32 v14, v12, 12, v8
	s_delay_alu instid0(VALU_DEP_3) | instskip(SKIP_3) | instid1(VALU_DEP_2)
	v_or_b32_e32 v11, v15, v11
	s_wait_alu 0xfffd
	v_cndmask_b32_e64 v6, 0, 1, vcc_lo
	v_cmp_gt_i32_e32 vcc_lo, 1, v10
	v_or_b32_e32 v6, v16, v6
	s_wait_alu 0xfffd
	v_cndmask_b32_e32 v11, v13, v11, vcc_lo
	v_cmp_gt_i32_e32 vcc_lo, 1, v12
	s_wait_alu 0xfffd
	s_delay_alu instid0(VALU_DEP_2) | instskip(SKIP_2) | instid1(VALU_DEP_3)
	v_dual_cndmask_b32 v6, v14, v6 :: v_dual_and_b32 v13, 7, v11
	v_cmp_ne_u32_e32 vcc_lo, 0, v4
	v_lshrrev_b32_e32 v11, 2, v11
	v_cmp_eq_u32_e64 s0, 3, v13
	s_delay_alu instid0(VALU_DEP_4)
	v_and_b32_e32 v14, 7, v6
	s_wait_alu 0xfffd
	v_cndmask_b32_e64 v4, 0, 1, vcc_lo
	v_cmp_ne_u32_e32 vcc_lo, 0, v8
	v_lshrrev_b32_e32 v6, 2, v6
	v_cmp_lt_i32_e64 s1, 5, v14
	v_cmp_eq_u32_e64 s2, 3, v14
	s_wait_alu 0xfffd
	v_cndmask_b32_e64 v8, 0, 1, vcc_lo
	v_cmp_lt_i32_e32 vcc_lo, 5, v13
	v_lshl_or_b32 v4, v4, 9, 0x7c00
	s_delay_alu instid0(VALU_DEP_3)
	v_lshl_or_b32 v8, v8, 9, 0x7c00
	s_or_b32 vcc_lo, s0, vcc_lo
	s_wait_alu 0xfffe
	v_add_co_ci_u32_e32 v11, vcc_lo, 0, v11, vcc_lo
	s_or_b32 vcc_lo, s2, s1
	s_wait_alu 0xfffe
	v_add_co_ci_u32_e32 v6, vcc_lo, 0, v6, vcc_lo
	v_cmp_gt_i32_e32 vcc_lo, 31, v10
	s_wait_alu 0xfffd
	v_cndmask_b32_e32 v11, 0x7c00, v11, vcc_lo
	v_cmp_gt_i32_e32 vcc_lo, 31, v12
	s_wait_alu 0xfffd
	v_cndmask_b32_e32 v6, 0x7c00, v6, vcc_lo
	v_cmp_eq_u32_e32 vcc_lo, 0x40f, v10
	s_wait_alu 0xfffd
	v_cndmask_b32_e32 v4, v11, v4, vcc_lo
	v_cmp_eq_u32_e32 vcc_lo, 0x40f, v12
	s_delay_alu instid0(VALU_DEP_2)
	v_and_or_b32 v4, 0x8000, v7, v4
	s_wait_alu 0xfffd
	v_cndmask_b32_e32 v6, v6, v8, vcc_lo
	v_add_co_u32 v2, vcc_lo, v2, s6
	s_wait_alu 0xfffd
	v_add_co_ci_u32_e32 v3, vcc_lo, s7, v3, vcc_lo
	s_delay_alu instid0(VALU_DEP_3) | instskip(SKIP_1) | instid1(VALU_DEP_1)
	v_and_or_b32 v6, 0x8000, v9, v6
	v_and_b32_e32 v4, 0xffff, v4
	v_lshl_or_b32 v4, v6, 16, v4
	v_lshrrev_b32_e32 v6, 16, v5
	global_store_b32 v[2:3], v4, off
	global_load_b32 v4, v[0:1], off offset:2340
	s_wait_loadcnt 0x0
	v_lshrrev_b32_e32 v7, 16, v4
	s_delay_alu instid0(VALU_DEP_1) | instskip(SKIP_1) | instid1(VALU_DEP_2)
	v_mul_f16_e32 v8, v6, v7
	v_mul_f16_e32 v7, v5, v7
	v_fmac_f16_e32 v8, v5, v4
	s_delay_alu instid0(VALU_DEP_2) | instskip(NEXT) | instid1(VALU_DEP_2)
	v_fma_f16 v4, v4, v6, -v7
	v_cvt_f32_f16_e32 v5, v8
	s_delay_alu instid0(VALU_DEP_2) | instskip(NEXT) | instid1(VALU_DEP_2)
	v_cvt_f32_f16_e32 v6, v4
	v_cvt_f64_f32_e32 v[4:5], v5
	s_delay_alu instid0(VALU_DEP_2) | instskip(NEXT) | instid1(VALU_DEP_2)
	v_cvt_f64_f32_e32 v[6:7], v6
	v_mul_f64_e32 v[4:5], s[8:9], v[4:5]
	s_delay_alu instid0(VALU_DEP_2) | instskip(NEXT) | instid1(VALU_DEP_2)
	v_mul_f64_e32 v[6:7], s[8:9], v[6:7]
	v_and_or_b32 v4, 0x1ff, v5, v4
	s_delay_alu instid0(VALU_DEP_2)
	v_and_or_b32 v6, 0x1ff, v7, v6
	v_lshrrev_b32_e32 v8, 8, v5
	v_bfe_u32 v9, v5, 20, 11
	v_lshrrev_b32_e32 v10, 8, v7
	v_cmp_ne_u32_e32 vcc_lo, 0, v4
	v_bfe_u32 v11, v7, 20, 11
	v_lshrrev_b32_e32 v5, 16, v5
	v_sub_nc_u32_e32 v12, 0x3f1, v9
	v_add_nc_u32_e32 v9, 0xfffffc10, v9
	s_wait_alu 0xfffd
	v_cndmask_b32_e64 v4, 0, 1, vcc_lo
	v_cmp_ne_u32_e32 vcc_lo, 0, v6
	v_lshrrev_b32_e32 v7, 16, v7
	s_delay_alu instid0(VALU_DEP_3) | instskip(SKIP_4) | instid1(VALU_DEP_3)
	v_and_or_b32 v4, 0xffe, v8, v4
	s_wait_alu 0xfffd
	v_cndmask_b32_e64 v6, 0, 1, vcc_lo
	v_sub_nc_u32_e32 v8, 0x3f1, v11
	v_add_nc_u32_e32 v11, 0xfffffc10, v11
	v_and_or_b32 v6, 0xffe, v10, v6
	v_med3_i32 v10, v12, 0, 13
	v_or_b32_e32 v12, 0x1000, v4
	v_med3_i32 v8, v8, 0, 13
	s_delay_alu instid0(VALU_DEP_4) | instskip(NEXT) | instid1(VALU_DEP_3)
	v_or_b32_e32 v13, 0x1000, v6
	v_lshrrev_b32_e32 v14, v10, v12
	s_delay_alu instid0(VALU_DEP_2) | instskip(NEXT) | instid1(VALU_DEP_2)
	v_lshrrev_b32_e32 v15, v8, v13
	v_lshlrev_b32_e32 v10, v10, v14
	s_delay_alu instid0(VALU_DEP_2) | instskip(NEXT) | instid1(VALU_DEP_2)
	v_lshlrev_b32_e32 v8, v8, v15
	v_cmp_ne_u32_e32 vcc_lo, v10, v12
	v_lshl_or_b32 v12, v9, 12, v4
	s_wait_alu 0xfffd
	v_cndmask_b32_e64 v10, 0, 1, vcc_lo
	v_cmp_ne_u32_e32 vcc_lo, v8, v13
	v_lshl_or_b32 v13, v11, 12, v6
	s_delay_alu instid0(VALU_DEP_3) | instskip(SKIP_3) | instid1(VALU_DEP_2)
	v_or_b32_e32 v10, v14, v10
	s_wait_alu 0xfffd
	v_cndmask_b32_e64 v8, 0, 1, vcc_lo
	v_cmp_gt_i32_e32 vcc_lo, 1, v9
	v_or_b32_e32 v8, v15, v8
	s_wait_alu 0xfffd
	v_cndmask_b32_e32 v10, v12, v10, vcc_lo
	v_cmp_gt_i32_e32 vcc_lo, 1, v11
	s_delay_alu instid0(VALU_DEP_2)
	v_and_b32_e32 v12, 7, v10
	s_wait_alu 0xfffd
	v_cndmask_b32_e32 v8, v13, v8, vcc_lo
	v_cmp_ne_u32_e32 vcc_lo, 0, v4
	v_lshrrev_b32_e32 v10, 2, v10
	v_cmp_eq_u32_e64 s0, 3, v12
	s_delay_alu instid0(VALU_DEP_4)
	v_and_b32_e32 v13, 7, v8
	s_wait_alu 0xfffd
	v_cndmask_b32_e64 v4, 0, 1, vcc_lo
	v_cmp_ne_u32_e32 vcc_lo, 0, v6
	v_lshrrev_b32_e32 v8, 2, v8
	v_cmp_lt_i32_e64 s1, 5, v13
	v_cmp_eq_u32_e64 s2, 3, v13
	s_wait_alu 0xfffd
	v_cndmask_b32_e64 v6, 0, 1, vcc_lo
	v_cmp_lt_i32_e32 vcc_lo, 5, v12
	v_lshl_or_b32 v4, v4, 9, 0x7c00
	s_delay_alu instid0(VALU_DEP_3)
	v_lshl_or_b32 v6, v6, 9, 0x7c00
	s_or_b32 vcc_lo, s0, vcc_lo
	s_wait_alu 0xfffe
	v_add_co_ci_u32_e32 v10, vcc_lo, 0, v10, vcc_lo
	s_or_b32 vcc_lo, s2, s1
	s_wait_alu 0xfffe
	v_add_co_ci_u32_e32 v8, vcc_lo, 0, v8, vcc_lo
	v_cmp_gt_i32_e32 vcc_lo, 31, v9
	s_wait_alu 0xfffd
	v_cndmask_b32_e32 v10, 0x7c00, v10, vcc_lo
	v_cmp_gt_i32_e32 vcc_lo, 31, v11
	s_wait_alu 0xfffd
	v_cndmask_b32_e32 v8, 0x7c00, v8, vcc_lo
	v_cmp_eq_u32_e32 vcc_lo, 0x40f, v9
	s_wait_alu 0xfffd
	v_cndmask_b32_e32 v4, v10, v4, vcc_lo
	v_cmp_eq_u32_e32 vcc_lo, 0x40f, v11
	s_delay_alu instid0(VALU_DEP_2)
	v_and_or_b32 v4, 0x8000, v5, v4
	s_wait_alu 0xfffd
	v_cndmask_b32_e32 v6, v8, v6, vcc_lo
	v_add_co_u32 v2, vcc_lo, v2, s6
	s_wait_alu 0xfffd
	v_add_co_ci_u32_e32 v3, vcc_lo, s7, v3, vcc_lo
	s_delay_alu instid0(VALU_DEP_3) | instskip(SKIP_1) | instid1(VALU_DEP_1)
	v_and_or_b32 v5, 0x8000, v7, v6
	v_and_b32_e32 v4, 0xffff, v4
	v_lshl_or_b32 v4, v5, 16, v4
	global_store_b32 v[2:3], v4, off
	global_load_b32 v6, v[0:1], off offset:2988
	v_add_nc_u32_e32 v4, 0xb00, v63
	ds_load_2addr_b32 v[4:5], v4 offset0:43 offset1:205
	s_wait_dscnt 0x0
	v_lshrrev_b32_e32 v7, 16, v4
	s_wait_loadcnt 0x0
	v_lshrrev_b32_e32 v8, 16, v6
	s_delay_alu instid0(VALU_DEP_1) | instskip(SKIP_1) | instid1(VALU_DEP_2)
	v_mul_f16_e32 v9, v7, v8
	v_mul_f16_e32 v8, v4, v8
	v_fmac_f16_e32 v9, v4, v6
	s_delay_alu instid0(VALU_DEP_2) | instskip(NEXT) | instid1(VALU_DEP_2)
	v_fma_f16 v4, v6, v7, -v8
	v_cvt_f32_f16_e32 v6, v9
	s_delay_alu instid0(VALU_DEP_2) | instskip(NEXT) | instid1(VALU_DEP_2)
	v_cvt_f32_f16_e32 v4, v4
	v_cvt_f64_f32_e32 v[6:7], v6
	s_delay_alu instid0(VALU_DEP_2) | instskip(NEXT) | instid1(VALU_DEP_2)
	v_cvt_f64_f32_e32 v[8:9], v4
	v_mul_f64_e32 v[6:7], s[8:9], v[6:7]
	s_delay_alu instid0(VALU_DEP_2) | instskip(NEXT) | instid1(VALU_DEP_2)
	v_mul_f64_e32 v[8:9], s[8:9], v[8:9]
	v_and_or_b32 v4, 0x1ff, v7, v6
	s_delay_alu instid0(VALU_DEP_2)
	v_and_or_b32 v8, 0x1ff, v9, v8
	v_lshrrev_b32_e32 v6, 8, v7
	v_bfe_u32 v10, v7, 20, 11
	v_lshrrev_b32_e32 v11, 8, v9
	v_cmp_ne_u32_e32 vcc_lo, 0, v4
	v_bfe_u32 v12, v9, 20, 11
	v_lshrrev_b32_e32 v7, 16, v7
	v_sub_nc_u32_e32 v13, 0x3f1, v10
	v_add_nc_u32_e32 v10, 0xfffffc10, v10
	s_wait_alu 0xfffd
	v_cndmask_b32_e64 v4, 0, 1, vcc_lo
	v_cmp_ne_u32_e32 vcc_lo, 0, v8
	v_lshrrev_b32_e32 v9, 16, v9
	s_delay_alu instid0(VALU_DEP_3) | instskip(SKIP_4) | instid1(VALU_DEP_3)
	v_and_or_b32 v4, 0xffe, v6, v4
	s_wait_alu 0xfffd
	v_cndmask_b32_e64 v8, 0, 1, vcc_lo
	v_sub_nc_u32_e32 v6, 0x3f1, v12
	v_add_nc_u32_e32 v12, 0xfffffc10, v12
	v_and_or_b32 v8, 0xffe, v11, v8
	v_med3_i32 v11, v13, 0, 13
	v_or_b32_e32 v13, 0x1000, v4
	v_med3_i32 v6, v6, 0, 13
	s_delay_alu instid0(VALU_DEP_4) | instskip(NEXT) | instid1(VALU_DEP_3)
	v_or_b32_e32 v14, 0x1000, v8
	v_lshrrev_b32_e32 v15, v11, v13
	s_delay_alu instid0(VALU_DEP_2) | instskip(NEXT) | instid1(VALU_DEP_2)
	v_lshrrev_b32_e32 v16, v6, v14
	v_lshlrev_b32_e32 v11, v11, v15
	s_delay_alu instid0(VALU_DEP_2) | instskip(NEXT) | instid1(VALU_DEP_2)
	v_lshlrev_b32_e32 v6, v6, v16
	v_cmp_ne_u32_e32 vcc_lo, v11, v13
	v_lshl_or_b32 v13, v10, 12, v4
	s_wait_alu 0xfffd
	v_cndmask_b32_e64 v11, 0, 1, vcc_lo
	v_cmp_ne_u32_e32 vcc_lo, v6, v14
	v_lshl_or_b32 v14, v12, 12, v8
	s_delay_alu instid0(VALU_DEP_3) | instskip(SKIP_3) | instid1(VALU_DEP_2)
	v_or_b32_e32 v11, v15, v11
	s_wait_alu 0xfffd
	v_cndmask_b32_e64 v6, 0, 1, vcc_lo
	v_cmp_gt_i32_e32 vcc_lo, 1, v10
	v_or_b32_e32 v6, v16, v6
	s_wait_alu 0xfffd
	v_cndmask_b32_e32 v11, v13, v11, vcc_lo
	v_cmp_gt_i32_e32 vcc_lo, 1, v12
	s_wait_alu 0xfffd
	s_delay_alu instid0(VALU_DEP_2) | instskip(SKIP_2) | instid1(VALU_DEP_3)
	v_dual_cndmask_b32 v6, v14, v6 :: v_dual_and_b32 v13, 7, v11
	v_cmp_ne_u32_e32 vcc_lo, 0, v4
	v_lshrrev_b32_e32 v11, 2, v11
	v_cmp_eq_u32_e64 s0, 3, v13
	s_delay_alu instid0(VALU_DEP_4)
	v_and_b32_e32 v14, 7, v6
	s_wait_alu 0xfffd
	v_cndmask_b32_e64 v4, 0, 1, vcc_lo
	v_cmp_ne_u32_e32 vcc_lo, 0, v8
	v_lshrrev_b32_e32 v6, 2, v6
	v_cmp_lt_i32_e64 s1, 5, v14
	v_cmp_eq_u32_e64 s2, 3, v14
	s_wait_alu 0xfffd
	v_cndmask_b32_e64 v8, 0, 1, vcc_lo
	v_cmp_lt_i32_e32 vcc_lo, 5, v13
	v_lshl_or_b32 v4, v4, 9, 0x7c00
	s_delay_alu instid0(VALU_DEP_3)
	v_lshl_or_b32 v8, v8, 9, 0x7c00
	s_or_b32 vcc_lo, s0, vcc_lo
	s_wait_alu 0xfffe
	v_add_co_ci_u32_e32 v11, vcc_lo, 0, v11, vcc_lo
	s_or_b32 vcc_lo, s2, s1
	s_wait_alu 0xfffe
	v_add_co_ci_u32_e32 v6, vcc_lo, 0, v6, vcc_lo
	v_cmp_gt_i32_e32 vcc_lo, 31, v10
	s_wait_alu 0xfffd
	v_cndmask_b32_e32 v11, 0x7c00, v11, vcc_lo
	v_cmp_gt_i32_e32 vcc_lo, 31, v12
	s_wait_alu 0xfffd
	v_cndmask_b32_e32 v6, 0x7c00, v6, vcc_lo
	v_cmp_eq_u32_e32 vcc_lo, 0x40f, v10
	s_wait_alu 0xfffd
	v_cndmask_b32_e32 v4, v11, v4, vcc_lo
	v_cmp_eq_u32_e32 vcc_lo, 0x40f, v12
	s_delay_alu instid0(VALU_DEP_2)
	v_and_or_b32 v4, 0x8000, v7, v4
	s_wait_alu 0xfffd
	v_cndmask_b32_e32 v6, v6, v8, vcc_lo
	v_add_co_u32 v2, vcc_lo, v2, s6
	s_wait_alu 0xfffd
	v_add_co_ci_u32_e32 v3, vcc_lo, s7, v3, vcc_lo
	s_delay_alu instid0(VALU_DEP_3) | instskip(SKIP_1) | instid1(VALU_DEP_1)
	v_and_or_b32 v6, 0x8000, v9, v6
	v_and_b32_e32 v4, 0xffff, v4
	v_lshl_or_b32 v4, v6, 16, v4
	v_lshrrev_b32_e32 v6, 16, v5
	global_store_b32 v[2:3], v4, off
	global_load_b32 v4, v[0:1], off offset:3636
	s_wait_loadcnt 0x0
	v_lshrrev_b32_e32 v7, 16, v4
	s_delay_alu instid0(VALU_DEP_1) | instskip(SKIP_1) | instid1(VALU_DEP_2)
	v_mul_f16_e32 v8, v6, v7
	v_mul_f16_e32 v7, v5, v7
	v_fmac_f16_e32 v8, v5, v4
	s_delay_alu instid0(VALU_DEP_2) | instskip(NEXT) | instid1(VALU_DEP_2)
	v_fma_f16 v4, v4, v6, -v7
	v_cvt_f32_f16_e32 v5, v8
	s_delay_alu instid0(VALU_DEP_2) | instskip(NEXT) | instid1(VALU_DEP_2)
	v_cvt_f32_f16_e32 v6, v4
	v_cvt_f64_f32_e32 v[4:5], v5
	s_delay_alu instid0(VALU_DEP_2) | instskip(NEXT) | instid1(VALU_DEP_2)
	v_cvt_f64_f32_e32 v[6:7], v6
	v_mul_f64_e32 v[4:5], s[8:9], v[4:5]
	s_delay_alu instid0(VALU_DEP_2) | instskip(NEXT) | instid1(VALU_DEP_2)
	v_mul_f64_e32 v[6:7], s[8:9], v[6:7]
	v_and_or_b32 v4, 0x1ff, v5, v4
	s_delay_alu instid0(VALU_DEP_2)
	v_and_or_b32 v6, 0x1ff, v7, v6
	v_lshrrev_b32_e32 v8, 8, v5
	v_bfe_u32 v9, v5, 20, 11
	v_lshrrev_b32_e32 v10, 8, v7
	v_cmp_ne_u32_e32 vcc_lo, 0, v4
	v_bfe_u32 v11, v7, 20, 11
	v_lshrrev_b32_e32 v5, 16, v5
	v_sub_nc_u32_e32 v12, 0x3f1, v9
	v_add_nc_u32_e32 v9, 0xfffffc10, v9
	s_wait_alu 0xfffd
	v_cndmask_b32_e64 v4, 0, 1, vcc_lo
	v_cmp_ne_u32_e32 vcc_lo, 0, v6
	v_lshrrev_b32_e32 v7, 16, v7
	s_delay_alu instid0(VALU_DEP_3) | instskip(SKIP_4) | instid1(VALU_DEP_3)
	v_and_or_b32 v4, 0xffe, v8, v4
	s_wait_alu 0xfffd
	v_cndmask_b32_e64 v6, 0, 1, vcc_lo
	v_sub_nc_u32_e32 v8, 0x3f1, v11
	v_add_nc_u32_e32 v11, 0xfffffc10, v11
	v_and_or_b32 v6, 0xffe, v10, v6
	v_med3_i32 v10, v12, 0, 13
	v_or_b32_e32 v12, 0x1000, v4
	v_med3_i32 v8, v8, 0, 13
	s_delay_alu instid0(VALU_DEP_4) | instskip(NEXT) | instid1(VALU_DEP_3)
	v_or_b32_e32 v13, 0x1000, v6
	v_lshrrev_b32_e32 v14, v10, v12
	s_delay_alu instid0(VALU_DEP_2) | instskip(NEXT) | instid1(VALU_DEP_2)
	v_lshrrev_b32_e32 v15, v8, v13
	v_lshlrev_b32_e32 v10, v10, v14
	s_delay_alu instid0(VALU_DEP_2) | instskip(NEXT) | instid1(VALU_DEP_2)
	v_lshlrev_b32_e32 v8, v8, v15
	v_cmp_ne_u32_e32 vcc_lo, v10, v12
	v_lshl_or_b32 v12, v9, 12, v4
	s_wait_alu 0xfffd
	v_cndmask_b32_e64 v10, 0, 1, vcc_lo
	v_cmp_ne_u32_e32 vcc_lo, v8, v13
	v_lshl_or_b32 v13, v11, 12, v6
	s_delay_alu instid0(VALU_DEP_3) | instskip(SKIP_3) | instid1(VALU_DEP_2)
	v_or_b32_e32 v10, v14, v10
	s_wait_alu 0xfffd
	v_cndmask_b32_e64 v8, 0, 1, vcc_lo
	v_cmp_gt_i32_e32 vcc_lo, 1, v9
	v_or_b32_e32 v8, v15, v8
	s_wait_alu 0xfffd
	v_cndmask_b32_e32 v10, v12, v10, vcc_lo
	v_cmp_gt_i32_e32 vcc_lo, 1, v11
	s_delay_alu instid0(VALU_DEP_2)
	v_and_b32_e32 v12, 7, v10
	s_wait_alu 0xfffd
	v_cndmask_b32_e32 v8, v13, v8, vcc_lo
	v_cmp_ne_u32_e32 vcc_lo, 0, v4
	v_lshrrev_b32_e32 v10, 2, v10
	v_cmp_eq_u32_e64 s0, 3, v12
	s_delay_alu instid0(VALU_DEP_4)
	v_and_b32_e32 v13, 7, v8
	s_wait_alu 0xfffd
	v_cndmask_b32_e64 v4, 0, 1, vcc_lo
	v_cmp_ne_u32_e32 vcc_lo, 0, v6
	v_lshrrev_b32_e32 v8, 2, v8
	v_cmp_lt_i32_e64 s1, 5, v13
	v_cmp_eq_u32_e64 s2, 3, v13
	s_wait_alu 0xfffd
	v_cndmask_b32_e64 v6, 0, 1, vcc_lo
	v_cmp_lt_i32_e32 vcc_lo, 5, v12
	v_lshl_or_b32 v4, v4, 9, 0x7c00
	s_delay_alu instid0(VALU_DEP_3)
	v_lshl_or_b32 v6, v6, 9, 0x7c00
	s_or_b32 vcc_lo, s0, vcc_lo
	s_wait_alu 0xfffe
	v_add_co_ci_u32_e32 v10, vcc_lo, 0, v10, vcc_lo
	s_or_b32 vcc_lo, s2, s1
	s_wait_alu 0xfffe
	v_add_co_ci_u32_e32 v8, vcc_lo, 0, v8, vcc_lo
	v_cmp_gt_i32_e32 vcc_lo, 31, v9
	s_wait_alu 0xfffd
	v_cndmask_b32_e32 v10, 0x7c00, v10, vcc_lo
	v_cmp_gt_i32_e32 vcc_lo, 31, v11
	s_wait_alu 0xfffd
	v_cndmask_b32_e32 v8, 0x7c00, v8, vcc_lo
	v_cmp_eq_u32_e32 vcc_lo, 0x40f, v9
	s_wait_alu 0xfffd
	v_cndmask_b32_e32 v4, v10, v4, vcc_lo
	v_cmp_eq_u32_e32 vcc_lo, 0x40f, v11
	s_delay_alu instid0(VALU_DEP_2)
	v_and_or_b32 v4, 0x8000, v5, v4
	s_wait_alu 0xfffd
	v_cndmask_b32_e32 v6, v8, v6, vcc_lo
	v_add_co_u32 v2, vcc_lo, v2, s6
	s_wait_alu 0xfffd
	v_add_co_ci_u32_e32 v3, vcc_lo, s7, v3, vcc_lo
	s_delay_alu instid0(VALU_DEP_3) | instskip(SKIP_1) | instid1(VALU_DEP_1)
	v_and_or_b32 v5, 0x8000, v7, v6
	v_and_b32_e32 v4, 0xffff, v4
	v_lshl_or_b32 v4, v5, 16, v4
	global_store_b32 v[2:3], v4, off
	global_load_b32 v6, v[0:1], off offset:4284
	v_add_nc_u32_e32 v4, 0x1000, v63
	ds_load_2addr_b32 v[4:5], v4 offset0:47 offset1:209
	s_wait_dscnt 0x0
	v_lshrrev_b32_e32 v7, 16, v4
	s_wait_loadcnt 0x0
	v_lshrrev_b32_e32 v8, 16, v6
	s_delay_alu instid0(VALU_DEP_1) | instskip(SKIP_1) | instid1(VALU_DEP_2)
	v_mul_f16_e32 v9, v7, v8
	v_mul_f16_e32 v8, v4, v8
	v_fmac_f16_e32 v9, v4, v6
	s_delay_alu instid0(VALU_DEP_2) | instskip(NEXT) | instid1(VALU_DEP_2)
	v_fma_f16 v4, v6, v7, -v8
	v_cvt_f32_f16_e32 v6, v9
	s_delay_alu instid0(VALU_DEP_2) | instskip(NEXT) | instid1(VALU_DEP_2)
	v_cvt_f32_f16_e32 v4, v4
	v_cvt_f64_f32_e32 v[6:7], v6
	s_delay_alu instid0(VALU_DEP_2) | instskip(NEXT) | instid1(VALU_DEP_2)
	v_cvt_f64_f32_e32 v[8:9], v4
	v_mul_f64_e32 v[6:7], s[8:9], v[6:7]
	s_delay_alu instid0(VALU_DEP_2) | instskip(NEXT) | instid1(VALU_DEP_2)
	v_mul_f64_e32 v[8:9], s[8:9], v[8:9]
	v_and_or_b32 v4, 0x1ff, v7, v6
	s_delay_alu instid0(VALU_DEP_2)
	v_and_or_b32 v8, 0x1ff, v9, v8
	v_lshrrev_b32_e32 v6, 8, v7
	v_bfe_u32 v10, v7, 20, 11
	v_lshrrev_b32_e32 v11, 8, v9
	v_cmp_ne_u32_e32 vcc_lo, 0, v4
	v_bfe_u32 v12, v9, 20, 11
	v_lshrrev_b32_e32 v7, 16, v7
	v_sub_nc_u32_e32 v13, 0x3f1, v10
	v_add_nc_u32_e32 v10, 0xfffffc10, v10
	s_wait_alu 0xfffd
	v_cndmask_b32_e64 v4, 0, 1, vcc_lo
	v_cmp_ne_u32_e32 vcc_lo, 0, v8
	v_lshrrev_b32_e32 v9, 16, v9
	s_delay_alu instid0(VALU_DEP_3) | instskip(SKIP_4) | instid1(VALU_DEP_3)
	v_and_or_b32 v4, 0xffe, v6, v4
	s_wait_alu 0xfffd
	v_cndmask_b32_e64 v8, 0, 1, vcc_lo
	v_sub_nc_u32_e32 v6, 0x3f1, v12
	v_add_nc_u32_e32 v12, 0xfffffc10, v12
	v_and_or_b32 v8, 0xffe, v11, v8
	v_med3_i32 v11, v13, 0, 13
	v_or_b32_e32 v13, 0x1000, v4
	v_med3_i32 v6, v6, 0, 13
	s_delay_alu instid0(VALU_DEP_4) | instskip(NEXT) | instid1(VALU_DEP_3)
	v_or_b32_e32 v14, 0x1000, v8
	v_lshrrev_b32_e32 v15, v11, v13
	s_delay_alu instid0(VALU_DEP_2) | instskip(NEXT) | instid1(VALU_DEP_2)
	v_lshrrev_b32_e32 v16, v6, v14
	v_lshlrev_b32_e32 v11, v11, v15
	s_delay_alu instid0(VALU_DEP_2) | instskip(NEXT) | instid1(VALU_DEP_2)
	v_lshlrev_b32_e32 v6, v6, v16
	v_cmp_ne_u32_e32 vcc_lo, v11, v13
	v_lshl_or_b32 v13, v10, 12, v4
	s_wait_alu 0xfffd
	v_cndmask_b32_e64 v11, 0, 1, vcc_lo
	v_cmp_ne_u32_e32 vcc_lo, v6, v14
	v_lshl_or_b32 v14, v12, 12, v8
	s_delay_alu instid0(VALU_DEP_3) | instskip(SKIP_3) | instid1(VALU_DEP_2)
	v_or_b32_e32 v11, v15, v11
	s_wait_alu 0xfffd
	v_cndmask_b32_e64 v6, 0, 1, vcc_lo
	v_cmp_gt_i32_e32 vcc_lo, 1, v10
	v_or_b32_e32 v6, v16, v6
	s_wait_alu 0xfffd
	v_cndmask_b32_e32 v11, v13, v11, vcc_lo
	v_cmp_gt_i32_e32 vcc_lo, 1, v12
	s_wait_alu 0xfffd
	s_delay_alu instid0(VALU_DEP_2) | instskip(SKIP_2) | instid1(VALU_DEP_3)
	v_dual_cndmask_b32 v6, v14, v6 :: v_dual_and_b32 v13, 7, v11
	v_cmp_ne_u32_e32 vcc_lo, 0, v4
	v_lshrrev_b32_e32 v11, 2, v11
	v_cmp_eq_u32_e64 s0, 3, v13
	s_delay_alu instid0(VALU_DEP_4)
	v_and_b32_e32 v14, 7, v6
	s_wait_alu 0xfffd
	v_cndmask_b32_e64 v4, 0, 1, vcc_lo
	v_cmp_ne_u32_e32 vcc_lo, 0, v8
	v_lshrrev_b32_e32 v6, 2, v6
	v_cmp_lt_i32_e64 s1, 5, v14
	v_cmp_eq_u32_e64 s2, 3, v14
	s_wait_alu 0xfffd
	v_cndmask_b32_e64 v8, 0, 1, vcc_lo
	v_cmp_lt_i32_e32 vcc_lo, 5, v13
	v_lshl_or_b32 v4, v4, 9, 0x7c00
	s_delay_alu instid0(VALU_DEP_3)
	v_lshl_or_b32 v8, v8, 9, 0x7c00
	s_or_b32 vcc_lo, s0, vcc_lo
	s_wait_alu 0xfffe
	v_add_co_ci_u32_e32 v11, vcc_lo, 0, v11, vcc_lo
	s_or_b32 vcc_lo, s2, s1
	s_wait_alu 0xfffe
	v_add_co_ci_u32_e32 v6, vcc_lo, 0, v6, vcc_lo
	v_cmp_gt_i32_e32 vcc_lo, 31, v10
	s_wait_alu 0xfffd
	v_cndmask_b32_e32 v11, 0x7c00, v11, vcc_lo
	v_cmp_gt_i32_e32 vcc_lo, 31, v12
	s_wait_alu 0xfffd
	v_cndmask_b32_e32 v6, 0x7c00, v6, vcc_lo
	v_cmp_eq_u32_e32 vcc_lo, 0x40f, v10
	s_wait_alu 0xfffd
	v_cndmask_b32_e32 v4, v11, v4, vcc_lo
	v_cmp_eq_u32_e32 vcc_lo, 0x40f, v12
	s_delay_alu instid0(VALU_DEP_2)
	v_and_or_b32 v4, 0x8000, v7, v4
	s_wait_alu 0xfffd
	v_cndmask_b32_e32 v6, v6, v8, vcc_lo
	v_add_co_u32 v2, vcc_lo, v2, s6
	s_wait_alu 0xfffd
	v_add_co_ci_u32_e32 v3, vcc_lo, s7, v3, vcc_lo
	s_delay_alu instid0(VALU_DEP_3) | instskip(SKIP_1) | instid1(VALU_DEP_1)
	v_and_or_b32 v6, 0x8000, v9, v6
	v_and_b32_e32 v4, 0xffff, v4
	v_lshl_or_b32 v4, v6, 16, v4
	v_lshrrev_b32_e32 v6, 16, v5
	global_store_b32 v[2:3], v4, off
	global_load_b32 v4, v[0:1], off offset:4932
	s_wait_loadcnt 0x0
	v_lshrrev_b32_e32 v7, 16, v4
	s_delay_alu instid0(VALU_DEP_1) | instskip(SKIP_1) | instid1(VALU_DEP_2)
	v_mul_f16_e32 v8, v6, v7
	v_mul_f16_e32 v7, v5, v7
	v_fmac_f16_e32 v8, v5, v4
	s_delay_alu instid0(VALU_DEP_2) | instskip(NEXT) | instid1(VALU_DEP_2)
	v_fma_f16 v4, v4, v6, -v7
	v_cvt_f32_f16_e32 v5, v8
	s_delay_alu instid0(VALU_DEP_2) | instskip(NEXT) | instid1(VALU_DEP_2)
	v_cvt_f32_f16_e32 v6, v4
	v_cvt_f64_f32_e32 v[4:5], v5
	s_delay_alu instid0(VALU_DEP_2) | instskip(NEXT) | instid1(VALU_DEP_2)
	v_cvt_f64_f32_e32 v[6:7], v6
	v_mul_f64_e32 v[4:5], s[8:9], v[4:5]
	s_delay_alu instid0(VALU_DEP_2) | instskip(NEXT) | instid1(VALU_DEP_2)
	v_mul_f64_e32 v[6:7], s[8:9], v[6:7]
	v_and_or_b32 v4, 0x1ff, v5, v4
	s_delay_alu instid0(VALU_DEP_2)
	v_and_or_b32 v6, 0x1ff, v7, v6
	v_lshrrev_b32_e32 v8, 8, v5
	v_bfe_u32 v9, v5, 20, 11
	v_lshrrev_b32_e32 v10, 8, v7
	v_cmp_ne_u32_e32 vcc_lo, 0, v4
	v_bfe_u32 v11, v7, 20, 11
	v_lshrrev_b32_e32 v5, 16, v5
	v_sub_nc_u32_e32 v12, 0x3f1, v9
	v_add_nc_u32_e32 v9, 0xfffffc10, v9
	s_wait_alu 0xfffd
	v_cndmask_b32_e64 v4, 0, 1, vcc_lo
	v_cmp_ne_u32_e32 vcc_lo, 0, v6
	v_lshrrev_b32_e32 v7, 16, v7
	s_delay_alu instid0(VALU_DEP_3) | instskip(SKIP_4) | instid1(VALU_DEP_3)
	v_and_or_b32 v4, 0xffe, v8, v4
	s_wait_alu 0xfffd
	v_cndmask_b32_e64 v6, 0, 1, vcc_lo
	v_sub_nc_u32_e32 v8, 0x3f1, v11
	v_add_nc_u32_e32 v11, 0xfffffc10, v11
	v_and_or_b32 v6, 0xffe, v10, v6
	v_med3_i32 v10, v12, 0, 13
	v_or_b32_e32 v12, 0x1000, v4
	v_med3_i32 v8, v8, 0, 13
	s_delay_alu instid0(VALU_DEP_4) | instskip(NEXT) | instid1(VALU_DEP_3)
	v_or_b32_e32 v13, 0x1000, v6
	v_lshrrev_b32_e32 v14, v10, v12
	s_delay_alu instid0(VALU_DEP_2) | instskip(NEXT) | instid1(VALU_DEP_2)
	v_lshrrev_b32_e32 v15, v8, v13
	v_lshlrev_b32_e32 v10, v10, v14
	s_delay_alu instid0(VALU_DEP_2) | instskip(NEXT) | instid1(VALU_DEP_2)
	v_lshlrev_b32_e32 v8, v8, v15
	v_cmp_ne_u32_e32 vcc_lo, v10, v12
	v_lshl_or_b32 v12, v9, 12, v4
	s_wait_alu 0xfffd
	v_cndmask_b32_e64 v10, 0, 1, vcc_lo
	v_cmp_ne_u32_e32 vcc_lo, v8, v13
	v_lshl_or_b32 v13, v11, 12, v6
	s_delay_alu instid0(VALU_DEP_3) | instskip(SKIP_3) | instid1(VALU_DEP_2)
	v_or_b32_e32 v10, v14, v10
	s_wait_alu 0xfffd
	v_cndmask_b32_e64 v8, 0, 1, vcc_lo
	v_cmp_gt_i32_e32 vcc_lo, 1, v9
	v_or_b32_e32 v8, v15, v8
	s_wait_alu 0xfffd
	v_cndmask_b32_e32 v10, v12, v10, vcc_lo
	v_cmp_gt_i32_e32 vcc_lo, 1, v11
	s_delay_alu instid0(VALU_DEP_2)
	v_and_b32_e32 v12, 7, v10
	s_wait_alu 0xfffd
	v_cndmask_b32_e32 v8, v13, v8, vcc_lo
	v_cmp_ne_u32_e32 vcc_lo, 0, v4
	v_lshrrev_b32_e32 v10, 2, v10
	v_cmp_eq_u32_e64 s0, 3, v12
	s_delay_alu instid0(VALU_DEP_4)
	v_and_b32_e32 v13, 7, v8
	s_wait_alu 0xfffd
	v_cndmask_b32_e64 v4, 0, 1, vcc_lo
	v_cmp_ne_u32_e32 vcc_lo, 0, v6
	v_lshrrev_b32_e32 v8, 2, v8
	v_cmp_lt_i32_e64 s1, 5, v13
	v_cmp_eq_u32_e64 s2, 3, v13
	s_wait_alu 0xfffd
	v_cndmask_b32_e64 v6, 0, 1, vcc_lo
	v_cmp_lt_i32_e32 vcc_lo, 5, v12
	v_lshl_or_b32 v4, v4, 9, 0x7c00
	s_delay_alu instid0(VALU_DEP_3)
	v_lshl_or_b32 v6, v6, 9, 0x7c00
	s_or_b32 vcc_lo, s0, vcc_lo
	s_wait_alu 0xfffe
	v_add_co_ci_u32_e32 v10, vcc_lo, 0, v10, vcc_lo
	s_or_b32 vcc_lo, s2, s1
	s_wait_alu 0xfffe
	v_add_co_ci_u32_e32 v8, vcc_lo, 0, v8, vcc_lo
	v_cmp_gt_i32_e32 vcc_lo, 31, v9
	s_wait_alu 0xfffd
	v_cndmask_b32_e32 v10, 0x7c00, v10, vcc_lo
	v_cmp_gt_i32_e32 vcc_lo, 31, v11
	s_wait_alu 0xfffd
	v_cndmask_b32_e32 v8, 0x7c00, v8, vcc_lo
	v_cmp_eq_u32_e32 vcc_lo, 0x40f, v9
	s_wait_alu 0xfffd
	v_cndmask_b32_e32 v4, v10, v4, vcc_lo
	v_cmp_eq_u32_e32 vcc_lo, 0x40f, v11
	s_delay_alu instid0(VALU_DEP_2)
	v_and_or_b32 v4, 0x8000, v5, v4
	s_wait_alu 0xfffd
	v_cndmask_b32_e32 v6, v8, v6, vcc_lo
	v_add_co_u32 v2, vcc_lo, v2, s6
	s_wait_alu 0xfffd
	v_add_co_ci_u32_e32 v3, vcc_lo, s7, v3, vcc_lo
	s_delay_alu instid0(VALU_DEP_3) | instskip(SKIP_1) | instid1(VALU_DEP_1)
	v_and_or_b32 v5, 0x8000, v7, v6
	v_and_b32_e32 v4, 0xffff, v4
	v_lshl_or_b32 v4, v5, 16, v4
	global_store_b32 v[2:3], v4, off
	global_load_b32 v6, v[0:1], off offset:5580
	v_add_nc_u32_e32 v4, 0x1500, v63
	ds_load_2addr_b32 v[4:5], v4 offset0:51 offset1:213
	s_wait_dscnt 0x0
	v_lshrrev_b32_e32 v7, 16, v4
	s_wait_loadcnt 0x0
	v_lshrrev_b32_e32 v8, 16, v6
	s_delay_alu instid0(VALU_DEP_1) | instskip(SKIP_1) | instid1(VALU_DEP_2)
	v_mul_f16_e32 v9, v7, v8
	v_mul_f16_e32 v8, v4, v8
	v_fmac_f16_e32 v9, v4, v6
	s_delay_alu instid0(VALU_DEP_2) | instskip(NEXT) | instid1(VALU_DEP_2)
	v_fma_f16 v4, v6, v7, -v8
	v_cvt_f32_f16_e32 v6, v9
	s_delay_alu instid0(VALU_DEP_2) | instskip(NEXT) | instid1(VALU_DEP_2)
	v_cvt_f32_f16_e32 v4, v4
	v_cvt_f64_f32_e32 v[6:7], v6
	s_delay_alu instid0(VALU_DEP_2) | instskip(NEXT) | instid1(VALU_DEP_2)
	v_cvt_f64_f32_e32 v[8:9], v4
	v_mul_f64_e32 v[6:7], s[8:9], v[6:7]
	s_delay_alu instid0(VALU_DEP_2) | instskip(NEXT) | instid1(VALU_DEP_2)
	v_mul_f64_e32 v[8:9], s[8:9], v[8:9]
	v_and_or_b32 v4, 0x1ff, v7, v6
	s_delay_alu instid0(VALU_DEP_2)
	v_and_or_b32 v8, 0x1ff, v9, v8
	v_lshrrev_b32_e32 v6, 8, v7
	v_bfe_u32 v10, v7, 20, 11
	v_lshrrev_b32_e32 v11, 8, v9
	v_cmp_ne_u32_e32 vcc_lo, 0, v4
	v_bfe_u32 v12, v9, 20, 11
	v_lshrrev_b32_e32 v7, 16, v7
	v_sub_nc_u32_e32 v13, 0x3f1, v10
	v_add_nc_u32_e32 v10, 0xfffffc10, v10
	s_wait_alu 0xfffd
	v_cndmask_b32_e64 v4, 0, 1, vcc_lo
	v_cmp_ne_u32_e32 vcc_lo, 0, v8
	v_lshrrev_b32_e32 v9, 16, v9
	s_delay_alu instid0(VALU_DEP_3) | instskip(SKIP_4) | instid1(VALU_DEP_3)
	v_and_or_b32 v4, 0xffe, v6, v4
	s_wait_alu 0xfffd
	v_cndmask_b32_e64 v8, 0, 1, vcc_lo
	v_sub_nc_u32_e32 v6, 0x3f1, v12
	v_add_nc_u32_e32 v12, 0xfffffc10, v12
	v_and_or_b32 v8, 0xffe, v11, v8
	v_med3_i32 v11, v13, 0, 13
	v_or_b32_e32 v13, 0x1000, v4
	v_med3_i32 v6, v6, 0, 13
	s_delay_alu instid0(VALU_DEP_4) | instskip(NEXT) | instid1(VALU_DEP_3)
	v_or_b32_e32 v14, 0x1000, v8
	v_lshrrev_b32_e32 v15, v11, v13
	s_delay_alu instid0(VALU_DEP_2) | instskip(NEXT) | instid1(VALU_DEP_2)
	v_lshrrev_b32_e32 v16, v6, v14
	v_lshlrev_b32_e32 v11, v11, v15
	s_delay_alu instid0(VALU_DEP_2) | instskip(NEXT) | instid1(VALU_DEP_2)
	v_lshlrev_b32_e32 v6, v6, v16
	v_cmp_ne_u32_e32 vcc_lo, v11, v13
	v_lshl_or_b32 v13, v10, 12, v4
	s_wait_alu 0xfffd
	v_cndmask_b32_e64 v11, 0, 1, vcc_lo
	v_cmp_ne_u32_e32 vcc_lo, v6, v14
	v_lshl_or_b32 v14, v12, 12, v8
	s_delay_alu instid0(VALU_DEP_3) | instskip(SKIP_3) | instid1(VALU_DEP_2)
	v_or_b32_e32 v11, v15, v11
	s_wait_alu 0xfffd
	v_cndmask_b32_e64 v6, 0, 1, vcc_lo
	v_cmp_gt_i32_e32 vcc_lo, 1, v10
	v_or_b32_e32 v6, v16, v6
	s_wait_alu 0xfffd
	v_cndmask_b32_e32 v11, v13, v11, vcc_lo
	v_cmp_gt_i32_e32 vcc_lo, 1, v12
	s_wait_alu 0xfffd
	s_delay_alu instid0(VALU_DEP_2) | instskip(SKIP_2) | instid1(VALU_DEP_3)
	v_dual_cndmask_b32 v6, v14, v6 :: v_dual_and_b32 v13, 7, v11
	v_cmp_ne_u32_e32 vcc_lo, 0, v4
	v_lshrrev_b32_e32 v11, 2, v11
	v_cmp_eq_u32_e64 s0, 3, v13
	s_delay_alu instid0(VALU_DEP_4)
	v_and_b32_e32 v14, 7, v6
	s_wait_alu 0xfffd
	v_cndmask_b32_e64 v4, 0, 1, vcc_lo
	v_cmp_ne_u32_e32 vcc_lo, 0, v8
	v_lshrrev_b32_e32 v6, 2, v6
	v_cmp_lt_i32_e64 s1, 5, v14
	v_cmp_eq_u32_e64 s2, 3, v14
	s_wait_alu 0xfffd
	v_cndmask_b32_e64 v8, 0, 1, vcc_lo
	v_cmp_lt_i32_e32 vcc_lo, 5, v13
	v_lshl_or_b32 v4, v4, 9, 0x7c00
	s_delay_alu instid0(VALU_DEP_3)
	v_lshl_or_b32 v8, v8, 9, 0x7c00
	s_or_b32 vcc_lo, s0, vcc_lo
	s_wait_alu 0xfffe
	v_add_co_ci_u32_e32 v11, vcc_lo, 0, v11, vcc_lo
	s_or_b32 vcc_lo, s2, s1
	s_wait_alu 0xfffe
	v_add_co_ci_u32_e32 v6, vcc_lo, 0, v6, vcc_lo
	v_cmp_gt_i32_e32 vcc_lo, 31, v10
	s_wait_alu 0xfffd
	v_cndmask_b32_e32 v11, 0x7c00, v11, vcc_lo
	v_cmp_gt_i32_e32 vcc_lo, 31, v12
	s_wait_alu 0xfffd
	v_cndmask_b32_e32 v6, 0x7c00, v6, vcc_lo
	v_cmp_eq_u32_e32 vcc_lo, 0x40f, v10
	s_wait_alu 0xfffd
	v_cndmask_b32_e32 v4, v11, v4, vcc_lo
	v_cmp_eq_u32_e32 vcc_lo, 0x40f, v12
	s_delay_alu instid0(VALU_DEP_2)
	v_and_or_b32 v4, 0x8000, v7, v4
	s_wait_alu 0xfffd
	v_cndmask_b32_e32 v6, v6, v8, vcc_lo
	v_add_co_u32 v2, vcc_lo, v2, s6
	s_wait_alu 0xfffd
	v_add_co_ci_u32_e32 v3, vcc_lo, s7, v3, vcc_lo
	s_delay_alu instid0(VALU_DEP_3) | instskip(SKIP_1) | instid1(VALU_DEP_1)
	v_and_or_b32 v6, 0x8000, v9, v6
	v_and_b32_e32 v4, 0xffff, v4
	v_lshl_or_b32 v4, v6, 16, v4
	v_lshrrev_b32_e32 v6, 16, v5
	global_store_b32 v[2:3], v4, off
	global_load_b32 v4, v[0:1], off offset:6228
	s_wait_loadcnt 0x0
	v_lshrrev_b32_e32 v7, 16, v4
	s_delay_alu instid0(VALU_DEP_1) | instskip(SKIP_1) | instid1(VALU_DEP_2)
	v_mul_f16_e32 v8, v6, v7
	v_mul_f16_e32 v7, v5, v7
	v_fmac_f16_e32 v8, v5, v4
	s_delay_alu instid0(VALU_DEP_2) | instskip(NEXT) | instid1(VALU_DEP_2)
	v_fma_f16 v4, v4, v6, -v7
	v_cvt_f32_f16_e32 v5, v8
	s_delay_alu instid0(VALU_DEP_2) | instskip(NEXT) | instid1(VALU_DEP_2)
	v_cvt_f32_f16_e32 v6, v4
	v_cvt_f64_f32_e32 v[4:5], v5
	s_delay_alu instid0(VALU_DEP_2) | instskip(NEXT) | instid1(VALU_DEP_2)
	v_cvt_f64_f32_e32 v[6:7], v6
	v_mul_f64_e32 v[4:5], s[8:9], v[4:5]
	s_delay_alu instid0(VALU_DEP_2) | instskip(NEXT) | instid1(VALU_DEP_2)
	v_mul_f64_e32 v[6:7], s[8:9], v[6:7]
	v_and_or_b32 v4, 0x1ff, v5, v4
	s_delay_alu instid0(VALU_DEP_2)
	v_and_or_b32 v6, 0x1ff, v7, v6
	v_lshrrev_b32_e32 v8, 8, v5
	v_bfe_u32 v9, v5, 20, 11
	v_lshrrev_b32_e32 v10, 8, v7
	v_cmp_ne_u32_e32 vcc_lo, 0, v4
	v_bfe_u32 v11, v7, 20, 11
	v_lshrrev_b32_e32 v5, 16, v5
	v_sub_nc_u32_e32 v12, 0x3f1, v9
	v_add_nc_u32_e32 v9, 0xfffffc10, v9
	s_wait_alu 0xfffd
	v_cndmask_b32_e64 v4, 0, 1, vcc_lo
	v_cmp_ne_u32_e32 vcc_lo, 0, v6
	v_lshrrev_b32_e32 v7, 16, v7
	s_delay_alu instid0(VALU_DEP_3) | instskip(SKIP_4) | instid1(VALU_DEP_3)
	v_and_or_b32 v4, 0xffe, v8, v4
	s_wait_alu 0xfffd
	v_cndmask_b32_e64 v6, 0, 1, vcc_lo
	v_sub_nc_u32_e32 v8, 0x3f1, v11
	v_add_nc_u32_e32 v11, 0xfffffc10, v11
	v_and_or_b32 v6, 0xffe, v10, v6
	v_med3_i32 v10, v12, 0, 13
	v_or_b32_e32 v12, 0x1000, v4
	v_med3_i32 v8, v8, 0, 13
	s_delay_alu instid0(VALU_DEP_4) | instskip(NEXT) | instid1(VALU_DEP_3)
	v_or_b32_e32 v13, 0x1000, v6
	v_lshrrev_b32_e32 v14, v10, v12
	s_delay_alu instid0(VALU_DEP_2) | instskip(NEXT) | instid1(VALU_DEP_2)
	v_lshrrev_b32_e32 v15, v8, v13
	v_lshlrev_b32_e32 v10, v10, v14
	s_delay_alu instid0(VALU_DEP_2) | instskip(NEXT) | instid1(VALU_DEP_2)
	v_lshlrev_b32_e32 v8, v8, v15
	v_cmp_ne_u32_e32 vcc_lo, v10, v12
	v_lshl_or_b32 v12, v9, 12, v4
	s_wait_alu 0xfffd
	v_cndmask_b32_e64 v10, 0, 1, vcc_lo
	v_cmp_ne_u32_e32 vcc_lo, v8, v13
	v_lshl_or_b32 v13, v11, 12, v6
	s_delay_alu instid0(VALU_DEP_3) | instskip(SKIP_3) | instid1(VALU_DEP_2)
	v_or_b32_e32 v10, v14, v10
	s_wait_alu 0xfffd
	v_cndmask_b32_e64 v8, 0, 1, vcc_lo
	v_cmp_gt_i32_e32 vcc_lo, 1, v9
	v_or_b32_e32 v8, v15, v8
	s_wait_alu 0xfffd
	v_cndmask_b32_e32 v10, v12, v10, vcc_lo
	v_cmp_gt_i32_e32 vcc_lo, 1, v11
	s_delay_alu instid0(VALU_DEP_2)
	v_and_b32_e32 v12, 7, v10
	s_wait_alu 0xfffd
	v_cndmask_b32_e32 v8, v13, v8, vcc_lo
	v_cmp_ne_u32_e32 vcc_lo, 0, v4
	v_lshrrev_b32_e32 v10, 2, v10
	v_cmp_eq_u32_e64 s0, 3, v12
	s_delay_alu instid0(VALU_DEP_4)
	v_and_b32_e32 v13, 7, v8
	s_wait_alu 0xfffd
	v_cndmask_b32_e64 v4, 0, 1, vcc_lo
	v_cmp_ne_u32_e32 vcc_lo, 0, v6
	v_lshrrev_b32_e32 v8, 2, v8
	v_cmp_lt_i32_e64 s1, 5, v13
	v_cmp_eq_u32_e64 s2, 3, v13
	s_wait_alu 0xfffd
	v_cndmask_b32_e64 v6, 0, 1, vcc_lo
	v_cmp_lt_i32_e32 vcc_lo, 5, v12
	v_lshl_or_b32 v4, v4, 9, 0x7c00
	s_delay_alu instid0(VALU_DEP_3)
	v_lshl_or_b32 v6, v6, 9, 0x7c00
	s_or_b32 vcc_lo, s0, vcc_lo
	s_wait_alu 0xfffe
	v_add_co_ci_u32_e32 v10, vcc_lo, 0, v10, vcc_lo
	s_or_b32 vcc_lo, s2, s1
	s_wait_alu 0xfffe
	v_add_co_ci_u32_e32 v8, vcc_lo, 0, v8, vcc_lo
	v_cmp_gt_i32_e32 vcc_lo, 31, v9
	s_wait_alu 0xfffd
	v_cndmask_b32_e32 v10, 0x7c00, v10, vcc_lo
	v_cmp_gt_i32_e32 vcc_lo, 31, v11
	s_wait_alu 0xfffd
	v_cndmask_b32_e32 v8, 0x7c00, v8, vcc_lo
	v_cmp_eq_u32_e32 vcc_lo, 0x40f, v9
	s_wait_alu 0xfffd
	v_cndmask_b32_e32 v4, v10, v4, vcc_lo
	v_cmp_eq_u32_e32 vcc_lo, 0x40f, v11
	s_delay_alu instid0(VALU_DEP_2)
	v_and_or_b32 v4, 0x8000, v5, v4
	s_wait_alu 0xfffd
	v_cndmask_b32_e32 v6, v8, v6, vcc_lo
	v_add_co_u32 v2, vcc_lo, v2, s6
	s_wait_alu 0xfffd
	v_add_co_ci_u32_e32 v3, vcc_lo, s7, v3, vcc_lo
	s_delay_alu instid0(VALU_DEP_3) | instskip(SKIP_1) | instid1(VALU_DEP_1)
	v_and_or_b32 v5, 0x8000, v7, v6
	v_and_b32_e32 v4, 0xffff, v4
	v_lshl_or_b32 v4, v5, 16, v4
	global_store_b32 v[2:3], v4, off
	global_load_b32 v0, v[0:1], off offset:6876
	ds_load_b32 v1, v63 offset:6876
	s_wait_dscnt 0x0
	v_lshrrev_b32_e32 v4, 16, v1
	s_wait_loadcnt 0x0
	v_lshrrev_b32_e32 v5, 16, v0
	s_delay_alu instid0(VALU_DEP_1) | instskip(SKIP_1) | instid1(VALU_DEP_2)
	v_mul_f16_e32 v6, v4, v5
	v_mul_f16_e32 v5, v1, v5
	v_fmac_f16_e32 v6, v1, v0
	s_delay_alu instid0(VALU_DEP_2) | instskip(NEXT) | instid1(VALU_DEP_2)
	v_fma_f16 v0, v0, v4, -v5
	v_cvt_f32_f16_e32 v1, v6
	s_delay_alu instid0(VALU_DEP_2) | instskip(NEXT) | instid1(VALU_DEP_2)
	v_cvt_f32_f16_e32 v4, v0
	v_cvt_f64_f32_e32 v[0:1], v1
	s_delay_alu instid0(VALU_DEP_2) | instskip(NEXT) | instid1(VALU_DEP_2)
	v_cvt_f64_f32_e32 v[4:5], v4
	v_mul_f64_e32 v[0:1], s[8:9], v[0:1]
	s_delay_alu instid0(VALU_DEP_2) | instskip(NEXT) | instid1(VALU_DEP_2)
	v_mul_f64_e32 v[4:5], s[8:9], v[4:5]
	v_and_or_b32 v0, 0x1ff, v1, v0
	s_delay_alu instid0(VALU_DEP_2)
	v_and_or_b32 v4, 0x1ff, v5, v4
	v_lshrrev_b32_e32 v6, 8, v1
	v_bfe_u32 v7, v1, 20, 11
	v_lshrrev_b32_e32 v8, 8, v5
	v_cmp_ne_u32_e32 vcc_lo, 0, v0
	v_bfe_u32 v9, v5, 20, 11
	v_lshrrev_b32_e32 v1, 16, v1
	v_sub_nc_u32_e32 v10, 0x3f1, v7
	v_add_nc_u32_e32 v7, 0xfffffc10, v7
	s_wait_alu 0xfffd
	v_cndmask_b32_e64 v0, 0, 1, vcc_lo
	v_cmp_ne_u32_e32 vcc_lo, 0, v4
	v_lshrrev_b32_e32 v5, 16, v5
	s_delay_alu instid0(VALU_DEP_3) | instskip(SKIP_4) | instid1(VALU_DEP_3)
	v_and_or_b32 v0, 0xffe, v6, v0
	s_wait_alu 0xfffd
	v_cndmask_b32_e64 v4, 0, 1, vcc_lo
	v_sub_nc_u32_e32 v6, 0x3f1, v9
	v_add_nc_u32_e32 v9, 0xfffffc10, v9
	v_and_or_b32 v4, 0xffe, v8, v4
	v_med3_i32 v8, v10, 0, 13
	v_or_b32_e32 v10, 0x1000, v0
	v_med3_i32 v6, v6, 0, 13
	s_delay_alu instid0(VALU_DEP_4) | instskip(NEXT) | instid1(VALU_DEP_3)
	v_or_b32_e32 v11, 0x1000, v4
	v_lshrrev_b32_e32 v12, v8, v10
	s_delay_alu instid0(VALU_DEP_2) | instskip(NEXT) | instid1(VALU_DEP_2)
	v_lshrrev_b32_e32 v13, v6, v11
	v_lshlrev_b32_e32 v8, v8, v12
	s_delay_alu instid0(VALU_DEP_2) | instskip(NEXT) | instid1(VALU_DEP_2)
	v_lshlrev_b32_e32 v6, v6, v13
	v_cmp_ne_u32_e32 vcc_lo, v8, v10
	v_lshl_or_b32 v10, v7, 12, v0
	s_wait_alu 0xfffd
	v_cndmask_b32_e64 v8, 0, 1, vcc_lo
	v_cmp_ne_u32_e32 vcc_lo, v6, v11
	v_lshl_or_b32 v11, v9, 12, v4
	s_delay_alu instid0(VALU_DEP_3) | instskip(SKIP_3) | instid1(VALU_DEP_2)
	v_or_b32_e32 v8, v12, v8
	s_wait_alu 0xfffd
	v_cndmask_b32_e64 v6, 0, 1, vcc_lo
	v_cmp_gt_i32_e32 vcc_lo, 1, v7
	v_or_b32_e32 v6, v13, v6
	s_wait_alu 0xfffd
	v_cndmask_b32_e32 v8, v10, v8, vcc_lo
	v_cmp_gt_i32_e32 vcc_lo, 1, v9
	s_delay_alu instid0(VALU_DEP_2)
	v_and_b32_e32 v10, 7, v8
	s_wait_alu 0xfffd
	v_cndmask_b32_e32 v6, v11, v6, vcc_lo
	v_cmp_ne_u32_e32 vcc_lo, 0, v0
	v_lshrrev_b32_e32 v8, 2, v8
	v_cmp_eq_u32_e64 s0, 3, v10
	s_delay_alu instid0(VALU_DEP_4)
	v_and_b32_e32 v11, 7, v6
	s_wait_alu 0xfffd
	v_cndmask_b32_e64 v0, 0, 1, vcc_lo
	v_cmp_ne_u32_e32 vcc_lo, 0, v4
	v_lshrrev_b32_e32 v6, 2, v6
	v_cmp_lt_i32_e64 s1, 5, v11
	v_cmp_eq_u32_e64 s2, 3, v11
	s_wait_alu 0xfffd
	v_cndmask_b32_e64 v4, 0, 1, vcc_lo
	v_cmp_lt_i32_e32 vcc_lo, 5, v10
	v_lshl_or_b32 v0, v0, 9, 0x7c00
	s_delay_alu instid0(VALU_DEP_3)
	v_lshl_or_b32 v4, v4, 9, 0x7c00
	s_or_b32 vcc_lo, s0, vcc_lo
	s_wait_alu 0xfffe
	v_add_co_ci_u32_e32 v8, vcc_lo, 0, v8, vcc_lo
	s_or_b32 vcc_lo, s2, s1
	s_wait_alu 0xfffe
	v_add_co_ci_u32_e32 v6, vcc_lo, 0, v6, vcc_lo
	v_cmp_gt_i32_e32 vcc_lo, 31, v7
	s_wait_alu 0xfffd
	v_cndmask_b32_e32 v8, 0x7c00, v8, vcc_lo
	v_cmp_gt_i32_e32 vcc_lo, 31, v9
	s_wait_alu 0xfffd
	v_cndmask_b32_e32 v6, 0x7c00, v6, vcc_lo
	v_cmp_eq_u32_e32 vcc_lo, 0x40f, v7
	s_wait_alu 0xfffd
	v_cndmask_b32_e32 v0, v8, v0, vcc_lo
	v_cmp_eq_u32_e32 vcc_lo, 0x40f, v9
	s_delay_alu instid0(VALU_DEP_2) | instskip(SKIP_2) | instid1(VALU_DEP_2)
	v_and_or_b32 v0, 0x8000, v1, v0
	s_wait_alu 0xfffd
	v_cndmask_b32_e32 v4, v6, v4, vcc_lo
	v_and_b32_e32 v0, 0xffff, v0
	s_delay_alu instid0(VALU_DEP_2) | instskip(NEXT) | instid1(VALU_DEP_1)
	v_and_or_b32 v1, 0x8000, v5, v4
	v_lshl_or_b32 v4, v1, 16, v0
	v_add_co_u32 v0, vcc_lo, v2, s6
	s_wait_alu 0xfffd
	v_add_co_ci_u32_e32 v1, vcc_lo, s7, v3, vcc_lo
	global_store_b32 v[0:1], v4, off
.LBB0_15:
	s_nop 0
	s_sendmsg sendmsg(MSG_DEALLOC_VGPRS)
	s_endpgm
	.section	.rodata,"a",@progbits
	.p2align	6, 0x0
	.amdhsa_kernel bluestein_single_back_len1782_dim1_half_op_CI_CI
		.amdhsa_group_segment_fixed_size 7128
		.amdhsa_private_segment_fixed_size 0
		.amdhsa_kernarg_size 104
		.amdhsa_user_sgpr_count 2
		.amdhsa_user_sgpr_dispatch_ptr 0
		.amdhsa_user_sgpr_queue_ptr 0
		.amdhsa_user_sgpr_kernarg_segment_ptr 1
		.amdhsa_user_sgpr_dispatch_id 0
		.amdhsa_user_sgpr_private_segment_size 0
		.amdhsa_wavefront_size32 1
		.amdhsa_uses_dynamic_stack 0
		.amdhsa_enable_private_segment 0
		.amdhsa_system_sgpr_workgroup_id_x 1
		.amdhsa_system_sgpr_workgroup_id_y 0
		.amdhsa_system_sgpr_workgroup_id_z 0
		.amdhsa_system_sgpr_workgroup_info 0
		.amdhsa_system_vgpr_workitem_id 0
		.amdhsa_next_free_vgpr 227
		.amdhsa_next_free_sgpr 16
		.amdhsa_reserve_vcc 1
		.amdhsa_float_round_mode_32 0
		.amdhsa_float_round_mode_16_64 0
		.amdhsa_float_denorm_mode_32 3
		.amdhsa_float_denorm_mode_16_64 3
		.amdhsa_fp16_overflow 0
		.amdhsa_workgroup_processor_mode 1
		.amdhsa_memory_ordered 1
		.amdhsa_forward_progress 0
		.amdhsa_round_robin_scheduling 0
		.amdhsa_exception_fp_ieee_invalid_op 0
		.amdhsa_exception_fp_denorm_src 0
		.amdhsa_exception_fp_ieee_div_zero 0
		.amdhsa_exception_fp_ieee_overflow 0
		.amdhsa_exception_fp_ieee_underflow 0
		.amdhsa_exception_fp_ieee_inexact 0
		.amdhsa_exception_int_div_zero 0
	.end_amdhsa_kernel
	.text
.Lfunc_end0:
	.size	bluestein_single_back_len1782_dim1_half_op_CI_CI, .Lfunc_end0-bluestein_single_back_len1782_dim1_half_op_CI_CI
                                        ; -- End function
	.section	.AMDGPU.csdata,"",@progbits
; Kernel info:
; codeLenInByte = 45592
; NumSgprs: 18
; NumVgprs: 227
; ScratchSize: 0
; MemoryBound: 0
; FloatMode: 240
; IeeeMode: 1
; LDSByteSize: 7128 bytes/workgroup (compile time only)
; SGPRBlocks: 2
; VGPRBlocks: 28
; NumSGPRsForWavesPerEU: 18
; NumVGPRsForWavesPerEU: 227
; Occupancy: 6
; WaveLimiterHint : 1
; COMPUTE_PGM_RSRC2:SCRATCH_EN: 0
; COMPUTE_PGM_RSRC2:USER_SGPR: 2
; COMPUTE_PGM_RSRC2:TRAP_HANDLER: 0
; COMPUTE_PGM_RSRC2:TGID_X_EN: 1
; COMPUTE_PGM_RSRC2:TGID_Y_EN: 0
; COMPUTE_PGM_RSRC2:TGID_Z_EN: 0
; COMPUTE_PGM_RSRC2:TIDIG_COMP_CNT: 0
	.text
	.p2alignl 7, 3214868480
	.fill 96, 4, 3214868480
	.type	__hip_cuid_8fe1ecd296d35685,@object ; @__hip_cuid_8fe1ecd296d35685
	.section	.bss,"aw",@nobits
	.globl	__hip_cuid_8fe1ecd296d35685
__hip_cuid_8fe1ecd296d35685:
	.byte	0                               ; 0x0
	.size	__hip_cuid_8fe1ecd296d35685, 1

	.ident	"AMD clang version 19.0.0git (https://github.com/RadeonOpenCompute/llvm-project roc-6.4.0 25133 c7fe45cf4b819c5991fe208aaa96edf142730f1d)"
	.section	".note.GNU-stack","",@progbits
	.addrsig
	.addrsig_sym __hip_cuid_8fe1ecd296d35685
	.amdgpu_metadata
---
amdhsa.kernels:
  - .args:
      - .actual_access:  read_only
        .address_space:  global
        .offset:         0
        .size:           8
        .value_kind:     global_buffer
      - .actual_access:  read_only
        .address_space:  global
        .offset:         8
        .size:           8
        .value_kind:     global_buffer
      - .actual_access:  read_only
        .address_space:  global
        .offset:         16
        .size:           8
        .value_kind:     global_buffer
      - .actual_access:  read_only
        .address_space:  global
        .offset:         24
        .size:           8
        .value_kind:     global_buffer
      - .actual_access:  read_only
        .address_space:  global
        .offset:         32
        .size:           8
        .value_kind:     global_buffer
      - .offset:         40
        .size:           8
        .value_kind:     by_value
      - .address_space:  global
        .offset:         48
        .size:           8
        .value_kind:     global_buffer
      - .address_space:  global
        .offset:         56
        .size:           8
        .value_kind:     global_buffer
      - .address_space:  global
        .offset:         64
        .size:           8
        .value_kind:     global_buffer
      - .address_space:  global
        .offset:         72
        .size:           8
        .value_kind:     global_buffer
      - .offset:         80
        .size:           4
        .value_kind:     by_value
      - .address_space:  global
        .offset:         88
        .size:           8
        .value_kind:     global_buffer
      - .address_space:  global
        .offset:         96
        .size:           8
        .value_kind:     global_buffer
    .group_segment_fixed_size: 7128
    .kernarg_segment_align: 8
    .kernarg_segment_size: 104
    .language:       OpenCL C
    .language_version:
      - 2
      - 0
    .max_flat_workgroup_size: 99
    .name:           bluestein_single_back_len1782_dim1_half_op_CI_CI
    .private_segment_fixed_size: 0
    .sgpr_count:     18
    .sgpr_spill_count: 0
    .symbol:         bluestein_single_back_len1782_dim1_half_op_CI_CI.kd
    .uniform_work_group_size: 1
    .uses_dynamic_stack: false
    .vgpr_count:     227
    .vgpr_spill_count: 0
    .wavefront_size: 32
    .workgroup_processor_mode: 1
amdhsa.target:   amdgcn-amd-amdhsa--gfx1201
amdhsa.version:
  - 1
  - 2
...

	.end_amdgpu_metadata
